;; amdgpu-corpus repo=ROCm/rocFFT kind=compiled arch=gfx906 opt=O3
	.text
	.amdgcn_target "amdgcn-amd-amdhsa--gfx906"
	.amdhsa_code_object_version 6
	.protected	bluestein_single_back_len455_dim1_dp_op_CI_CI ; -- Begin function bluestein_single_back_len455_dim1_dp_op_CI_CI
	.globl	bluestein_single_back_len455_dim1_dp_op_CI_CI
	.p2align	8
	.type	bluestein_single_back_len455_dim1_dp_op_CI_CI,@function
bluestein_single_back_len455_dim1_dp_op_CI_CI: ; @bluestein_single_back_len455_dim1_dp_op_CI_CI
; %bb.0:
	v_mul_u32_u24_e32 v1, 0x3f1, v0
	s_load_dwordx4 s[0:3], s[4:5], 0x28
	v_lshrrev_b32_e32 v1, 16, v1
	v_mad_u64_u32 v[128:129], s[6:7], s6, 3, v[1:2]
	v_mov_b32_e32 v129, 0
	s_waitcnt lgkmcnt(0)
	v_cmp_gt_u64_e32 vcc, s[0:1], v[128:129]
	s_and_saveexec_b64 s[0:1], vcc
	s_cbranch_execz .LBB0_23
; %bb.1:
	s_mov_b32 s0, 0xaaaaaaab
	v_mul_hi_u32 v2, v128, s0
	v_mul_lo_u16_e32 v1, 0x41, v1
	s_load_dwordx2 s[14:15], s[4:5], 0x0
	s_load_dwordx2 s[12:13], s[4:5], 0x38
	v_sub_u16_e32 v205, v0, v1
	v_lshrrev_b32_e32 v0, 1, v2
	v_lshl_add_u32 v0, v0, 1, v0
	v_sub_u32_e32 v0, v128, v0
	v_mul_u32_u24_e32 v209, 0x1c7, v0
	v_cmp_gt_u16_e64 s[0:1], 35, v205
	v_lshlrev_b32_e32 v206, 4, v205
	v_lshlrev_b32_e32 v207, 4, v209
	s_and_saveexec_b64 s[6:7], s[0:1]
	s_cbranch_execz .LBB0_3
; %bb.2:
	s_load_dwordx2 s[8:9], s[4:5], 0x18
	s_waitcnt lgkmcnt(0)
	v_mov_b32_e32 v54, s15
	s_load_dwordx4 s[8:11], s[8:9], 0x0
	s_waitcnt lgkmcnt(0)
	v_mad_u64_u32 v[0:1], s[16:17], s10, v128, 0
	v_mad_u64_u32 v[2:3], s[16:17], s8, v205, 0
	;; [unrolled: 1-line block ×4, first 2 shown]
	v_mov_b32_e32 v1, v4
	v_lshlrev_b64 v[0:1], 4, v[0:1]
	v_mov_b32_e32 v3, v5
	v_mov_b32_e32 v6, s3
	v_lshlrev_b64 v[2:3], 4, v[2:3]
	v_add_co_u32_e32 v0, vcc, s2, v0
	v_addc_co_u32_e32 v1, vcc, v6, v1, vcc
	v_add_co_u32_e32 v16, vcc, v0, v2
	s_mul_i32 s2, s9, 0x230
	s_mul_hi_u32 s3, s8, 0x230
	v_addc_co_u32_e32 v17, vcc, v1, v3, vcc
	s_add_i32 s2, s3, s2
	s_mul_i32 s3, s8, 0x230
	v_mov_b32_e32 v0, s2
	v_add_co_u32_e32 v18, vcc, s3, v16
	v_addc_co_u32_e32 v19, vcc, v17, v0, vcc
	global_load_dwordx4 v[0:3], v[16:17], off
	global_load_dwordx4 v[4:7], v[18:19], off
	global_load_dwordx4 v[8:11], v206, s[14:15]
	global_load_dwordx4 v[12:15], v206, s[14:15] offset:560
	v_mov_b32_e32 v16, s2
	v_add_co_u32_e32 v32, vcc, s3, v18
	v_addc_co_u32_e32 v33, vcc, v19, v16, vcc
	v_add_co_u32_e32 v34, vcc, s3, v32
	v_addc_co_u32_e32 v35, vcc, v33, v16, vcc
	global_load_dwordx4 v[16:19], v[32:33], off
	global_load_dwordx4 v[20:23], v[34:35], off
	global_load_dwordx4 v[24:27], v206, s[14:15] offset:1120
	global_load_dwordx4 v[28:31], v206, s[14:15] offset:1680
	v_mov_b32_e32 v32, s2
	v_add_co_u32_e32 v52, vcc, s3, v34
	v_addc_co_u32_e32 v53, vcc, v35, v32, vcc
	v_add_co_u32_e32 v55, vcc, s14, v206
	global_load_dwordx4 v[32:35], v[52:53], off
	s_movk_i32 s8, 0x1000
	v_addc_co_u32_e32 v54, vcc, 0, v54, vcc
	v_add_co_u32_e32 v104, vcc, s8, v55
	v_addc_co_u32_e32 v105, vcc, 0, v54, vcc
	global_load_dwordx4 v[36:39], v206, s[14:15] offset:2240
	global_load_dwordx4 v[40:43], v206, s[14:15] offset:2800
	;; [unrolled: 1-line block ×4, first 2 shown]
	v_mov_b32_e32 v54, s2
	v_add_co_u32_e32 v56, vcc, s3, v52
	v_addc_co_u32_e32 v57, vcc, v53, v54, vcc
	v_mov_b32_e32 v58, s2
	v_add_co_u32_e32 v60, vcc, s3, v56
	v_addc_co_u32_e32 v61, vcc, v57, v58, vcc
	;; [unrolled: 3-line block ×4, first 2 shown]
	v_mov_b32_e32 v70, s2
	v_add_co_u32_e32 v80, vcc, s3, v68
	global_load_dwordx4 v[52:55], v[56:57], off
	v_addc_co_u32_e32 v81, vcc, v69, v70, vcc
	global_load_dwordx4 v[56:59], v[60:61], off
	v_mov_b32_e32 v82, s2
	v_add_co_u32_e32 v84, vcc, s3, v80
	global_load_dwordx4 v[60:63], v[64:65], off
	v_addc_co_u32_e32 v85, vcc, v81, v82, vcc
	global_load_dwordx4 v[64:67], v[68:69], off
	v_mov_b32_e32 v86, s2
	v_add_co_u32_e32 v96, vcc, s3, v84
	global_load_dwordx4 v[68:71], v[80:81], off
	global_load_dwordx4 v[72:75], v[104:105], off offset:384
	global_load_dwordx4 v[76:79], v[104:105], off offset:944
	v_addc_co_u32_e32 v97, vcc, v85, v86, vcc
	global_load_dwordx4 v[80:83], v[84:85], off
	v_mov_b32_e32 v98, s2
	v_add_co_u32_e32 v106, vcc, s3, v96
	global_load_dwordx4 v[84:87], v[96:97], off
	global_load_dwordx4 v[88:91], v[104:105], off offset:1504
	global_load_dwordx4 v[92:95], v[104:105], off offset:2064
	v_addc_co_u32_e32 v107, vcc, v97, v98, vcc
	global_load_dwordx4 v[96:99], v[106:107], off
	global_load_dwordx4 v[100:103], v[104:105], off offset:2624
	s_waitcnt vmcnt(23)
	v_mul_f64 v[104:105], v[2:3], v[10:11]
	v_mul_f64 v[10:11], v[0:1], v[10:11]
	s_waitcnt vmcnt(22)
	v_mul_f64 v[106:107], v[6:7], v[14:15]
	v_fma_f64 v[0:1], v[0:1], v[8:9], v[104:105]
	v_fma_f64 v[2:3], v[2:3], v[8:9], -v[10:11]
	v_mul_f64 v[8:9], v[4:5], v[14:15]
	s_waitcnt vmcnt(19)
	v_mul_f64 v[10:11], v[18:19], v[26:27]
	v_mul_f64 v[14:15], v[16:17], v[26:27]
	s_waitcnt vmcnt(18)
	v_mul_f64 v[26:27], v[22:23], v[30:31]
	v_mul_f64 v[30:31], v[20:21], v[30:31]
	v_fma_f64 v[4:5], v[4:5], v[12:13], v[106:107]
	v_fma_f64 v[6:7], v[6:7], v[12:13], -v[8:9]
	v_fma_f64 v[8:9], v[16:17], v[24:25], v[10:11]
	v_fma_f64 v[10:11], v[18:19], v[24:25], -v[14:15]
	;; [unrolled: 2-line block ×3, first 2 shown]
	v_lshl_add_u32 v20, v205, 4, v207
	s_waitcnt vmcnt(16)
	v_mul_f64 v[104:105], v[34:35], v[38:39]
	v_mul_f64 v[38:39], v[32:33], v[38:39]
	v_fma_f64 v[16:17], v[32:33], v[36:37], v[104:105]
	v_fma_f64 v[18:19], v[34:35], v[36:37], -v[38:39]
	v_add_u32_e32 v32, v207, v206
	ds_write_b128 v20, v[0:3]
	ds_write_b128 v32, v[4:7] offset:560
	ds_write_b128 v32, v[8:11] offset:1120
	;; [unrolled: 1-line block ×4, first 2 shown]
	s_waitcnt vmcnt(12)
	v_mul_f64 v[0:1], v[54:55], v[42:43]
	v_mul_f64 v[2:3], v[52:53], v[42:43]
	s_waitcnt vmcnt(11)
	v_mul_f64 v[4:5], v[58:59], v[46:47]
	v_mul_f64 v[6:7], v[56:57], v[46:47]
	;; [unrolled: 3-line block ×3, first 2 shown]
	v_fma_f64 v[0:1], v[52:53], v[40:41], v[0:1]
	v_fma_f64 v[2:3], v[54:55], v[40:41], -v[2:3]
	v_fma_f64 v[4:5], v[56:57], v[44:45], v[4:5]
	v_fma_f64 v[6:7], v[58:59], v[44:45], -v[6:7]
	s_waitcnt vmcnt(7)
	v_mul_f64 v[12:13], v[66:67], v[74:75]
	v_mul_f64 v[14:15], v[64:65], v[74:75]
	s_waitcnt vmcnt(6)
	v_mul_f64 v[16:17], v[70:71], v[78:79]
	v_mul_f64 v[18:19], v[68:69], v[78:79]
	v_fma_f64 v[8:9], v[60:61], v[48:49], v[8:9]
	v_fma_f64 v[10:11], v[62:63], v[48:49], -v[10:11]
	s_waitcnt vmcnt(3)
	v_mul_f64 v[20:21], v[82:83], v[90:91]
	v_mul_f64 v[22:23], v[80:81], v[90:91]
	s_waitcnt vmcnt(2)
	v_mul_f64 v[24:25], v[86:87], v[94:95]
	v_mul_f64 v[26:27], v[84:85], v[94:95]
	;; [unrolled: 3-line block ×3, first 2 shown]
	v_fma_f64 v[12:13], v[64:65], v[72:73], v[12:13]
	v_fma_f64 v[14:15], v[66:67], v[72:73], -v[14:15]
	v_fma_f64 v[16:17], v[68:69], v[76:77], v[16:17]
	v_fma_f64 v[18:19], v[70:71], v[76:77], -v[18:19]
	;; [unrolled: 2-line block ×5, first 2 shown]
	ds_write_b128 v32, v[0:3] offset:2800
	ds_write_b128 v32, v[4:7] offset:3360
	;; [unrolled: 1-line block ×8, first 2 shown]
.LBB0_3:
	s_or_b64 exec, exec, s[6:7]
	s_waitcnt lgkmcnt(0)
	s_barrier
	s_waitcnt lgkmcnt(0)
                                        ; implicit-def: $vgpr12_vgpr13
                                        ; implicit-def: $vgpr16_vgpr17
                                        ; implicit-def: $vgpr20_vgpr21
                                        ; implicit-def: $vgpr24_vgpr25
                                        ; implicit-def: $vgpr28_vgpr29
                                        ; implicit-def: $vgpr32_vgpr33
                                        ; implicit-def: $vgpr36_vgpr37
                                        ; implicit-def: $vgpr40_vgpr41
                                        ; implicit-def: $vgpr44_vgpr45
                                        ; implicit-def: $vgpr48_vgpr49
                                        ; implicit-def: $vgpr52_vgpr53
                                        ; implicit-def: $vgpr56_vgpr57
                                        ; implicit-def: $vgpr60_vgpr61
	s_and_saveexec_b64 s[2:3], s[0:1]
	s_cbranch_execz .LBB0_5
; %bb.4:
	v_lshl_add_u32 v0, v209, 4, v206
	ds_read_b128 v[12:15], v0
	ds_read_b128 v[16:19], v0 offset:560
	ds_read_b128 v[20:23], v0 offset:1120
	;; [unrolled: 1-line block ×12, first 2 shown]
.LBB0_5:
	s_or_b64 exec, exec, s[2:3]
	s_waitcnt lgkmcnt(0)
	v_add_f64 v[64:65], v[18:19], -v[62:63]
	s_mov_b32 s9, 0xbfddbe06
	s_mov_b32 s8, 0x4267c47c
	v_add_f64 v[98:99], v[16:17], v[60:61]
	v_add_f64 v[66:67], v[22:23], -v[58:59]
	v_add_f64 v[72:73], v[16:17], -v[60:61]
	s_mov_b32 s2, 0xe00740e9
	s_mov_b32 s24, 0x42a4c3d2
	v_mul_f64 v[84:85], v[64:65], s[8:9]
	s_mov_b32 s3, 0x3fec55a7
	s_mov_b32 s25, 0xbfea55e2
	v_add_f64 v[108:109], v[20:21], v[56:57]
	v_add_f64 v[110:111], v[18:19], v[62:63]
	v_add_f64 v[74:75], v[20:21], -v[56:57]
	v_mul_f64 v[86:87], v[66:67], s[24:25]
	v_mul_f64 v[88:89], v[72:73], s[8:9]
	v_fma_f64 v[0:1], v[98:99], s[2:3], v[84:85]
	v_add_f64 v[76:77], v[26:27], -v[54:55]
	s_mov_b32 s6, 0x1ea71119
	s_mov_b32 s28, 0x66966769
	;; [unrolled: 1-line block ×4, first 2 shown]
	v_add_f64 v[112:113], v[22:23], v[58:59]
	v_mul_f64 v[92:93], v[74:75], s[24:25]
	v_fma_f64 v[2:3], v[108:109], s[6:7], v[86:87]
	v_fma_f64 v[4:5], v[110:111], s[2:3], -v[88:89]
	v_add_f64 v[0:1], v[12:13], v[0:1]
	v_add_f64 v[120:121], v[24:25], v[52:53]
	v_mul_f64 v[90:91], v[76:77], s[28:29]
	v_add_f64 v[80:81], v[30:31], -v[50:51]
	s_mov_b32 s10, 0xebaa3ed8
	s_mov_b32 s16, 0x2ef20147
	s_mov_b32 s11, 0x3fbedb7d
	s_mov_b32 s17, 0xbfedeba7
	v_add_f64 v[78:79], v[24:25], -v[52:53]
	v_fma_f64 v[6:7], v[112:113], s[6:7], -v[92:93]
	v_add_f64 v[4:5], v[14:15], v[4:5]
	v_add_f64 v[0:1], v[2:3], v[0:1]
	v_fma_f64 v[2:3], v[120:121], s[10:11], v[90:91]
	v_add_f64 v[126:127], v[28:29], v[48:49]
	v_mul_f64 v[94:95], v[80:81], s[16:17]
	v_add_f64 v[210:211], v[34:35], -v[46:47]
	s_mov_b32 s20, 0xb2365da1
	s_mov_b32 s26, 0x24c2f84
	;; [unrolled: 1-line block ×4, first 2 shown]
	v_add_f64 v[139:140], v[26:27], v[54:55]
	v_mul_f64 v[96:97], v[78:79], s[28:29]
	v_add_f64 v[4:5], v[6:7], v[4:5]
	v_add_f64 v[82:83], v[28:29], -v[48:49]
	v_add_f64 v[0:1], v[2:3], v[0:1]
	v_fma_f64 v[6:7], v[126:127], s[20:21], v[94:95]
	v_add_f64 v[141:142], v[32:33], v[44:45]
	v_mul_f64 v[100:101], v[210:211], s[26:27]
	s_mov_b32 s18, 0xd0032e0c
	s_mov_b32 s19, 0xbfe7f3cc
	v_fma_f64 v[2:3], v[139:140], s[10:11], -v[96:97]
	v_add_f64 v[147:148], v[30:31], v[50:51]
	v_mul_f64 v[102:103], v[82:83], s[16:17]
	v_add_f64 v[212:213], v[32:33], -v[44:45]
	v_add_f64 v[0:1], v[6:7], v[0:1]
	v_fma_f64 v[6:7], v[141:142], s[18:19], v[100:101]
	v_mul_f64 v[116:117], v[64:65], s[24:25]
	v_mul_f64 v[151:152], v[72:73], s[24:25]
	v_add_f64 v[2:3], v[2:3], v[4:5]
	v_add_f64 v[149:150], v[34:35], v[46:47]
	v_fma_f64 v[4:5], v[147:148], s[20:21], -v[102:103]
	v_mul_f64 v[104:105], v[212:213], s[26:27]
	v_add_f64 v[214:215], v[38:39], -v[42:43]
	v_add_f64 v[0:1], v[6:7], v[0:1]
	v_fma_f64 v[6:7], v[98:99], s[6:7], v[116:117]
	v_mul_f64 v[118:119], v[66:67], s[16:17]
	v_fma_f64 v[8:9], v[110:111], s[6:7], -v[151:152]
	v_mul_f64 v[129:130], v[74:75], s[16:17]
	v_add_f64 v[216:217], v[36:37], -v[40:41]
	s_mov_b32 s34, 0x4bc48dbf
	s_mov_b32 s35, 0xbfcea1e5
	v_add_f64 v[2:3], v[4:5], v[2:3]
	v_fma_f64 v[4:5], v[149:150], s[18:19], -v[104:105]
	v_add_f64 v[165:166], v[36:37], v[40:41]
	v_mul_f64 v[106:107], v[214:215], s[34:35]
	v_add_f64 v[6:7], v[12:13], v[6:7]
	v_fma_f64 v[10:11], v[108:109], s[20:21], v[118:119]
	v_add_f64 v[8:9], v[14:15], v[8:9]
	v_fma_f64 v[68:69], v[112:113], s[20:21], -v[129:130]
	v_mul_f64 v[122:123], v[76:77], s[34:35]
	v_mul_f64 v[133:134], v[78:79], s[34:35]
	v_add_f64 v[169:170], v[38:39], v[42:43]
	v_mul_f64 v[114:115], v[216:217], s[34:35]
	s_mov_b32 s22, 0x93053d00
	s_mov_b32 s23, 0xbfef11f4
	;; [unrolled: 1-line block ×4, first 2 shown]
	v_fma_f64 v[70:71], v[165:166], s[22:23], v[106:107]
	v_add_f64 v[6:7], v[10:11], v[6:7]
	v_add_f64 v[8:9], v[68:69], v[8:9]
	v_fma_f64 v[10:11], v[120:121], s[22:23], v[122:123]
	v_fma_f64 v[68:69], v[139:140], s[22:23], -v[133:134]
	v_mul_f64 v[124:125], v[80:81], s[36:37]
	v_mul_f64 v[135:136], v[82:83], s[36:37]
	v_add_f64 v[2:3], v[4:5], v[2:3]
	v_fma_f64 v[4:5], v[169:170], s[22:23], -v[114:115]
	v_mul_f64 v[145:146], v[64:65], s[28:29]
	v_mul_f64 v[177:178], v[72:73], s[28:29]
	s_mov_b32 s31, 0x3fefc445
	s_mov_b32 s30, s28
	v_add_f64 v[0:1], v[70:71], v[0:1]
	v_add_f64 v[6:7], v[10:11], v[6:7]
	;; [unrolled: 1-line block ×3, first 2 shown]
	v_fma_f64 v[10:11], v[126:127], s[18:19], v[124:125]
	v_fma_f64 v[68:69], v[147:148], s[18:19], -v[135:136]
	v_mul_f64 v[131:132], v[210:211], s[30:31]
	v_add_f64 v[2:3], v[4:5], v[2:3]
	v_mul_f64 v[143:144], v[212:213], s[30:31]
	v_fma_f64 v[4:5], v[98:99], s[10:11], v[145:146]
	v_mul_f64 v[153:154], v[66:67], s[34:35]
	v_fma_f64 v[70:71], v[110:111], s[10:11], -v[177:178]
	v_mul_f64 v[179:180], v[74:75], s[34:35]
	s_mov_b32 s39, 0x3fedeba7
	s_mov_b32 s38, s16
	v_add_f64 v[6:7], v[10:11], v[6:7]
	v_add_f64 v[8:9], v[68:69], v[8:9]
	v_fma_f64 v[10:11], v[141:142], s[10:11], v[131:132]
	v_fma_f64 v[68:69], v[149:150], s[10:11], -v[143:144]
	v_add_f64 v[4:5], v[12:13], v[4:5]
	v_fma_f64 v[157:158], v[108:109], s[22:23], v[153:154]
	v_add_f64 v[70:71], v[14:15], v[70:71]
	v_mul_f64 v[155:156], v[76:77], s[38:39]
	v_fma_f64 v[159:160], v[112:113], s[22:23], -v[179:180]
	v_mul_f64 v[161:162], v[78:79], s[38:39]
	s_mov_b32 s9, 0x3fddbe06
	v_add_f64 v[6:7], v[10:11], v[6:7]
	v_mul_f64 v[137:138], v[214:215], s[8:9]
	v_add_f64 v[8:9], v[68:69], v[8:9]
	v_add_f64 v[4:5], v[157:158], v[4:5]
	v_fma_f64 v[10:11], v[120:121], s[20:21], v[155:156]
	v_add_f64 v[68:69], v[159:160], v[70:71]
	v_fma_f64 v[70:71], v[139:140], s[20:21], -v[161:162]
	v_mul_f64 v[159:160], v[80:81], s[8:9]
	v_mul_f64 v[183:184], v[64:65], s[16:17]
	v_mul_f64 v[199:200], v[72:73], s[16:17]
	v_mul_f64 v[163:164], v[82:83], s[8:9]
	v_fma_f64 v[167:168], v[165:166], s[2:3], v[137:138]
	v_add_f64 v[10:11], v[10:11], v[4:5]
	v_mul_f64 v[185:186], v[66:67], s[36:37]
	v_add_f64 v[68:69], v[70:71], v[68:69]
	v_fma_f64 v[70:71], v[126:127], s[2:3], v[159:160]
	v_fma_f64 v[175:176], v[98:99], s[20:21], v[183:184]
	v_fma_f64 v[181:182], v[110:111], s[20:21], -v[199:200]
	v_mul_f64 v[197:198], v[74:75], s[36:37]
	v_fma_f64 v[171:172], v[147:148], s[2:3], -v[163:164]
	v_add_f64 v[4:5], v[167:168], v[6:7]
	v_mul_f64 v[167:168], v[210:211], s[24:25]
	v_mul_f64 v[173:174], v[212:213], s[24:25]
	v_add_f64 v[10:11], v[70:71], v[10:11]
	v_add_f64 v[70:71], v[12:13], v[175:176]
	v_fma_f64 v[189:190], v[108:109], s[18:19], v[185:186]
	v_add_f64 v[181:182], v[14:15], v[181:182]
	v_fma_f64 v[191:192], v[112:113], s[18:19], -v[197:198]
	v_mul_f64 v[187:188], v[76:77], s[8:9]
	v_mul_f64 v[201:202], v[78:79], s[8:9]
	;; [unrolled: 1-line block ×3, first 2 shown]
	v_add_f64 v[68:69], v[171:172], v[68:69]
	v_fma_f64 v[195:196], v[141:142], s[6:7], v[167:168]
	v_fma_f64 v[203:204], v[149:150], s[6:7], -v[173:174]
	v_mul_f64 v[171:172], v[214:215], s[26:27]
	v_mul_f64 v[175:176], v[216:217], s[26:27]
	v_add_f64 v[70:71], v[189:190], v[70:71]
	v_add_f64 v[181:182], v[191:192], v[181:182]
	v_fma_f64 v[191:192], v[120:121], s[2:3], v[187:188]
	v_fma_f64 v[218:219], v[139:140], s[2:3], -v[201:202]
	v_mul_f64 v[189:190], v[80:81], s[28:29]
	v_fma_f64 v[6:7], v[169:170], s[2:3], -v[157:158]
	v_mul_f64 v[193:194], v[82:83], s[28:29]
	v_add_f64 v[10:11], v[195:196], v[10:11]
	v_add_f64 v[68:69], v[203:204], v[68:69]
	v_fma_f64 v[203:204], v[165:166], s[18:19], v[171:172]
	v_fma_f64 v[220:221], v[169:170], s[18:19], -v[175:176]
	v_add_f64 v[70:71], v[191:192], v[70:71]
	v_add_f64 v[191:192], v[218:219], v[181:182]
	v_fma_f64 v[218:219], v[126:127], s[10:11], v[189:190]
	v_fma_f64 v[222:223], v[147:148], s[10:11], -v[193:194]
	v_add_f64 v[6:7], v[6:7], v[8:9]
	v_mul_f64 v[224:225], v[64:65], s[26:27]
	v_add_f64 v[8:9], v[203:204], v[10:11]
	v_add_f64 v[10:11], v[220:221], v[68:69]
	s_mov_b32 s37, 0x3fcea1e5
	s_mov_b32 s36, s34
	v_add_f64 v[68:69], v[218:219], v[70:71]
	v_mul_f64 v[218:219], v[72:73], s[26:27]
	v_mul_f64 v[181:182], v[210:211], s[36:37]
	;; [unrolled: 1-line block ×3, first 2 shown]
	v_add_f64 v[70:71], v[222:223], v[191:192]
	v_fma_f64 v[222:223], v[98:99], s[18:19], -v[224:225]
	v_mul_f64 v[226:227], v[66:67], s[30:31]
	v_mul_f64 v[230:231], v[74:75], s[30:31]
	v_fma_f64 v[224:225], v[98:99], s[18:19], v[224:225]
	v_fma_f64 v[228:229], v[110:111], s[18:19], v[218:219]
	v_fma_f64 v[218:219], v[110:111], s[18:19], -v[218:219]
	s_mov_b32 s29, 0x3fea55e2
	s_mov_b32 s28, s24
	v_fma_f64 v[203:204], v[141:142], s[22:23], v[181:182]
	v_fma_f64 v[220:221], v[149:150], s[22:23], -v[195:196]
	v_mul_f64 v[191:192], v[214:215], s[28:29]
	v_fma_f64 v[232:233], v[108:109], s[10:11], -v[226:227]
	v_mul_f64 v[234:235], v[76:77], s[24:25]
	v_add_f64 v[228:229], v[14:15], v[228:229]
	v_fma_f64 v[236:237], v[112:113], s[10:11], v[230:231]
	v_mul_f64 v[238:239], v[78:79], s[24:25]
	v_add_f64 v[224:225], v[12:13], v[224:225]
	v_fma_f64 v[226:227], v[108:109], s[10:11], v[226:227]
	v_add_f64 v[218:219], v[14:15], v[218:219]
	v_fma_f64 v[230:231], v[112:113], s[10:11], -v[230:231]
	v_add_f64 v[68:69], v[203:204], v[68:69]
	v_add_f64 v[222:223], v[12:13], v[222:223]
	;; [unrolled: 1-line block ×3, first 2 shown]
	v_fma_f64 v[220:221], v[165:166], s[6:7], v[191:192]
	v_mul_f64 v[240:241], v[80:81], s[36:37]
	v_add_f64 v[228:229], v[236:237], v[228:229]
	v_fma_f64 v[236:237], v[139:140], s[6:7], v[238:239]
	v_mul_f64 v[244:245], v[82:83], s[36:37]
	v_add_f64 v[224:225], v[226:227], v[224:225]
	v_fma_f64 v[226:227], v[120:121], s[6:7], v[234:235]
	v_add_f64 v[218:219], v[230:231], v[218:219]
	v_fma_f64 v[230:231], v[139:140], s[6:7], -v[238:239]
	v_add_f64 v[222:223], v[232:233], v[222:223]
	v_fma_f64 v[232:233], v[120:121], s[6:7], -v[234:235]
	v_add_f64 v[228:229], v[236:237], v[228:229]
	v_fma_f64 v[236:237], v[147:148], s[22:23], v[244:245]
	v_mul_f64 v[246:247], v[210:211], s[8:9]
	v_mul_f64 v[248:249], v[212:213], s[8:9]
	v_add_f64 v[68:69], v[220:221], v[68:69]
	v_add_f64 v[220:221], v[226:227], v[224:225]
	v_fma_f64 v[224:225], v[126:127], s[22:23], v[240:241]
	v_add_f64 v[218:219], v[230:231], v[218:219]
	v_fma_f64 v[226:227], v[147:148], s[22:23], -v[244:245]
	v_mul_f64 v[64:65], v[64:65], s[34:35]
	v_mul_f64 v[72:73], v[72:73], s[34:35]
	v_add_f64 v[222:223], v[232:233], v[222:223]
	v_fma_f64 v[232:233], v[126:127], s[22:23], -v[240:241]
	v_add_f64 v[228:229], v[236:237], v[228:229]
	v_add_f64 v[220:221], v[224:225], v[220:221]
	v_fma_f64 v[224:225], v[141:142], s[2:3], v[246:247]
	v_add_f64 v[218:219], v[226:227], v[218:219]
	v_fma_f64 v[226:227], v[149:150], s[2:3], -v[248:249]
	v_fma_f64 v[236:237], v[98:99], s[22:23], -v[64:65]
	v_mul_f64 v[66:67], v[66:67], s[8:9]
	v_fma_f64 v[240:241], v[110:111], s[22:23], v[72:73]
	v_mul_f64 v[74:75], v[74:75], s[8:9]
	v_fma_f64 v[64:65], v[98:99], s[22:23], v[64:65]
	v_fma_f64 v[72:73], v[110:111], s[22:23], -v[72:73]
	v_add_f64 v[220:221], v[224:225], v[220:221]
	v_add_f64 v[218:219], v[226:227], v[218:219]
	;; [unrolled: 1-line block ×3, first 2 shown]
	v_fma_f64 v[226:227], v[108:109], s[2:3], -v[66:67]
	v_add_f64 v[236:237], v[14:15], v[240:241]
	v_fma_f64 v[240:241], v[112:113], s[2:3], v[74:75]
	v_mul_f64 v[76:77], v[76:77], s[26:27]
	v_mul_f64 v[78:79], v[78:79], s[26:27]
	v_add_f64 v[64:65], v[12:13], v[64:65]
	v_fma_f64 v[66:67], v[108:109], s[2:3], v[66:67]
	v_add_f64 v[72:73], v[14:15], v[72:73]
	v_fma_f64 v[74:75], v[112:113], s[2:3], -v[74:75]
	v_add_f64 v[224:225], v[226:227], v[224:225]
	v_add_f64 v[226:227], v[240:241], v[236:237]
	v_fma_f64 v[236:237], v[120:121], s[18:19], -v[76:77]
	v_fma_f64 v[240:241], v[139:140], s[18:19], v[78:79]
	v_mul_f64 v[80:81], v[80:81], s[28:29]
	v_mul_f64 v[82:83], v[82:83], s[28:29]
	v_add_f64 v[64:65], v[66:67], v[64:65]
	v_add_f64 v[66:67], v[74:75], v[72:73]
	v_fma_f64 v[72:73], v[120:121], s[18:19], v[76:77]
	v_fma_f64 v[74:75], v[139:140], s[18:19], -v[78:79]
	v_add_f64 v[222:223], v[232:233], v[222:223]
	v_fma_f64 v[232:233], v[141:142], s[2:3], -v[246:247]
	v_add_f64 v[76:77], v[236:237], v[224:225]
	v_add_f64 v[78:79], v[240:241], v[226:227]
	v_fma_f64 v[224:225], v[126:127], s[6:7], -v[80:81]
	v_fma_f64 v[226:227], v[147:148], s[6:7], v[82:83]
	v_mul_f64 v[210:211], v[210:211], s[16:17]
	v_mul_f64 v[212:213], v[212:213], s[16:17]
	v_add_f64 v[64:65], v[72:73], v[64:65]
	v_add_f64 v[66:67], v[74:75], v[66:67]
	v_fma_f64 v[72:73], v[126:127], s[6:7], v[80:81]
	v_fma_f64 v[74:75], v[147:148], s[6:7], -v[82:83]
	v_mul_f64 v[203:204], v[216:217], s[28:29]
	v_fma_f64 v[234:235], v[149:150], s[2:3], v[248:249]
	v_add_f64 v[222:223], v[232:233], v[222:223]
	v_mul_f64 v[230:231], v[214:215], s[16:17]
	v_mul_f64 v[232:233], v[216:217], s[16:17]
	v_add_f64 v[76:77], v[224:225], v[76:77]
	v_add_f64 v[78:79], v[226:227], v[78:79]
	v_fma_f64 v[80:81], v[141:142], s[20:21], -v[210:211]
	v_fma_f64 v[82:83], v[149:150], s[20:21], v[212:213]
	v_mul_f64 v[214:215], v[214:215], s[30:31]
	v_mul_f64 v[216:217], v[216:217], s[30:31]
	v_add_f64 v[64:65], v[72:73], v[64:65]
	v_add_f64 v[66:67], v[74:75], v[66:67]
	v_fma_f64 v[72:73], v[141:142], s[20:21], v[210:211]
	v_fma_f64 v[74:75], v[149:150], s[20:21], -v[212:213]
	v_fma_f64 v[242:243], v[169:170], s[6:7], -v[203:204]
	v_add_f64 v[228:229], v[234:235], v[228:229]
	v_fma_f64 v[234:235], v[165:166], s[20:21], -v[230:231]
	v_fma_f64 v[238:239], v[169:170], s[20:21], v[232:233]
	v_fma_f64 v[210:211], v[165:166], s[20:21], v[230:231]
	v_fma_f64 v[212:213], v[169:170], s[20:21], -v[232:233]
	v_add_f64 v[76:77], v[80:81], v[76:77]
	v_add_f64 v[78:79], v[82:83], v[78:79]
	v_fma_f64 v[224:225], v[165:166], s[10:11], -v[214:215]
	v_fma_f64 v[226:227], v[169:170], s[10:11], v[216:217]
	v_add_f64 v[230:231], v[72:73], v[64:65]
	v_add_f64 v[232:233], v[74:75], v[66:67]
	v_fma_f64 v[214:215], v[165:166], s[10:11], v[214:215]
	v_fma_f64 v[216:217], v[169:170], s[10:11], -v[216:217]
	v_add_f64 v[70:71], v[242:243], v[70:71]
	v_add_f64 v[64:65], v[234:235], v[222:223]
	v_add_f64 v[66:67], v[238:239], v[228:229]
	v_add_f64 v[80:81], v[210:211], v[220:221]
	v_add_f64 v[82:83], v[212:213], v[218:219]
	v_add_f64 v[72:73], v[224:225], v[76:77]
	v_add_f64 v[74:75], v[226:227], v[78:79]
	v_add_f64 v[76:77], v[214:215], v[230:231]
	v_add_f64 v[78:79], v[216:217], v[232:233]
	s_load_dwordx2 s[16:17], s[4:5], 0x20
	s_load_dwordx2 s[8:9], s[4:5], 0x8
	v_mul_lo_u16_e32 v208, 13, v205
	s_waitcnt lgkmcnt(0)
	s_barrier
	s_and_saveexec_b64 s[4:5], s[0:1]
	s_cbranch_execz .LBB0_7
; %bb.6:
	v_mul_f64 v[212:213], v[110:111], s[2:3]
	v_mul_f64 v[216:217], v[110:111], s[6:7]
	;; [unrolled: 1-line block ×11, first 2 shown]
	v_add_f64 v[110:111], v[199:200], v[110:111]
	v_mul_f64 v[98:99], v[98:99], s[20:21]
	v_mul_f64 v[242:243], v[139:140], s[2:3]
	;; [unrolled: 1-line block ×3, first 2 shown]
	v_add_f64 v[112:113], v[197:198], v[112:113]
	v_mul_f64 v[226:227], v[108:109], s[20:21]
	v_mul_f64 v[230:231], v[108:109], s[22:23]
	;; [unrolled: 1-line block ×3, first 2 shown]
	v_add_f64 v[110:111], v[14:15], v[110:111]
	v_mul_f64 v[244:245], v[147:148], s[10:11]
	v_add_f64 v[201:202], v[201:202], v[242:243]
	v_add_f64 v[98:99], v[98:99], -v[183:184]
	v_mul_f64 v[234:235], v[120:121], s[10:11]
	v_mul_f64 v[199:200], v[120:121], s[22:23]
	;; [unrolled: 1-line block ×4, first 2 shown]
	v_add_f64 v[110:111], v[112:113], v[110:111]
	v_add_f64 v[193:194], v[193:194], v[244:245]
	v_mul_f64 v[244:245], v[149:150], s[22:23]
	v_add_f64 v[108:109], v[108:109], -v[185:186]
	v_add_f64 v[98:99], v[12:13], v[98:99]
	v_mul_f64 v[197:198], v[126:127], s[20:21]
	v_mul_f64 v[242:243], v[126:127], s[18:19]
	;; [unrolled: 1-line block ×3, first 2 shown]
	v_add_f64 v[110:111], v[201:202], v[110:111]
	v_mul_f64 v[126:127], v[126:127], s[10:11]
	v_add_f64 v[195:196], v[195:196], v[244:245]
	v_mul_f64 v[244:245], v[169:170], s[6:7]
	v_add_f64 v[120:121], v[120:121], -v[187:188]
	v_add_f64 v[98:99], v[108:109], v[98:99]
	v_mul_f64 v[185:186], v[141:142], s[18:19]
	v_mul_f64 v[187:188], v[141:142], s[10:11]
	v_add_f64 v[110:111], v[193:194], v[110:111]
	v_mul_f64 v[193:194], v[141:142], s[6:7]
	v_mul_f64 v[141:142], v[141:142], s[22:23]
	v_add_f64 v[203:204], v[203:204], v[244:245]
	v_add_f64 v[126:127], v[126:127], -v[189:190]
	v_add_f64 v[98:99], v[120:121], v[98:99]
	v_add_f64 v[177:178], v[177:178], v[220:221]
	;; [unrolled: 1-line block ×5, first 2 shown]
	v_mul_f64 v[236:237], v[139:140], s[10:11]
	v_mul_f64 v[238:239], v[139:140], s[22:23]
	;; [unrolled: 1-line block ×3, first 2 shown]
	v_add_f64 v[141:142], v[141:142], -v[181:182]
	v_add_f64 v[126:127], v[126:127], v[98:99]
	v_add_f64 v[177:178], v[14:15], v[177:178]
	;; [unrolled: 1-line block ×7, first 2 shown]
	v_mul_f64 v[246:247], v[147:148], s[20:21]
	v_mul_f64 v[183:184], v[147:148], s[18:19]
	;; [unrolled: 1-line block ×3, first 2 shown]
	v_add_f64 v[126:127], v[141:142], v[126:127]
	v_add_f64 v[139:140], v[161:162], v[139:140]
	v_add_f64 v[141:142], v[218:219], -v[145:146]
	v_add_f64 v[110:111], v[110:111], v[177:178]
	v_add_f64 v[129:130], v[129:130], v[228:229]
	;; [unrolled: 1-line block ×5, first 2 shown]
	v_mul_f64 v[201:202], v[149:150], s[18:19]
	v_mul_f64 v[108:109], v[149:150], s[10:11]
	;; [unrolled: 1-line block ×3, first 2 shown]
	v_add_f64 v[20:21], v[163:164], v[147:148]
	v_add_f64 v[22:23], v[230:231], -v[153:154]
	v_add_f64 v[141:142], v[12:13], v[141:142]
	v_add_f64 v[110:111], v[139:140], v[110:111]
	v_add_f64 v[133:134], v[133:134], v[238:239]
	v_add_f64 v[129:130], v[129:130], v[145:146]
	v_add_f64 v[18:19], v[18:19], v[30:31]
	v_add_f64 v[16:17], v[16:17], v[28:29]
	v_add_f64 v[24:25], v[173:174], v[149:150]
	v_add_f64 v[26:27], v[240:241], -v[155:156]
	v_add_f64 v[22:23], v[22:23], v[141:142]
	v_add_f64 v[20:21], v[20:21], v[110:111]
	v_add_f64 v[110:111], v[135:136], v[183:184]
	v_add_f64 v[129:130], v[133:134], v[129:130]
	v_add_f64 v[18:19], v[18:19], v[34:35]
	v_add_f64 v[16:17], v[16:17], v[32:33]
	;; [unrolled: 8-line block ×3, first 2 shown]
	v_add_f64 v[36:37], v[214:215], -v[116:117]
	v_add_f64 v[14:15], v[14:15], v[88:89]
	v_add_f64 v[38:39], v[226:227], -v[118:119]
	v_add_f64 v[30:31], v[112:113], -v[159:160]
	v_mul_f64 v[195:196], v[169:170], s[2:3]
	v_add_f64 v[24:25], v[24:25], v[26:27]
	v_add_f64 v[26:27], v[210:211], -v[84:85]
	v_add_f64 v[18:19], v[18:19], v[42:43]
	v_add_f64 v[16:17], v[16:17], v[40:41]
	;; [unrolled: 1-line block ×4, first 2 shown]
	v_add_f64 v[42:43], v[234:235], -v[90:91]
	v_mul_f64 v[244:245], v[165:166], s[22:23]
	v_mul_f64 v[189:190], v[169:170], s[22:23]
	v_add_f64 v[26:27], v[12:13], v[26:27]
	v_add_f64 v[12:13], v[12:13], v[36:37]
	;; [unrolled: 1-line block ×5, first 2 shown]
	v_add_f64 v[36:37], v[199:200], -v[122:123]
	v_add_f64 v[44:45], v[102:103], v[246:247]
	v_mul_f64 v[169:170], v[169:170], s[18:19]
	v_add_f64 v[26:27], v[86:87], v[26:27]
	v_add_f64 v[12:13], v[38:39], v[12:13]
	;; [unrolled: 1-line block ×5, first 2 shown]
	v_add_f64 v[40:41], v[197:198], -v[94:95]
	v_add_f64 v[38:39], v[242:243], -v[124:125]
	v_mul_f64 v[120:121], v[165:166], s[2:3]
	v_add_f64 v[26:27], v[42:43], v[26:27]
	v_add_f64 v[12:13], v[36:37], v[12:13]
	;; [unrolled: 1-line block ×6, first 2 shown]
	v_add_f64 v[44:45], v[185:186], -v[100:101]
	v_add_f64 v[36:37], v[187:188], -v[131:132]
	v_add_f64 v[26:27], v[40:41], v[26:27]
	v_add_f64 v[12:13], v[38:39], v[12:13]
	v_mul_f64 v[220:221], v[165:166], s[6:7]
	v_mul_f64 v[165:166], v[165:166], s[18:19]
	v_add_f64 v[34:35], v[193:194], -v[167:168]
	v_add_f64 v[22:23], v[30:31], v[22:23]
	v_add_f64 v[30:31], v[157:158], v[195:196]
	;; [unrolled: 1-line block ×7, first 2 shown]
	v_add_f64 v[46:47], v[244:245], -v[106:107]
	v_add_f64 v[44:45], v[44:45], v[26:27]
	v_add_f64 v[38:39], v[120:121], -v[137:138]
	v_add_f64 v[12:13], v[36:37], v[12:13]
	;; [unrolled: 2-line block ×4, first 2 shown]
	v_add_f64 v[26:27], v[48:49], v[62:63]
	v_add_f64 v[24:25], v[16:17], v[60:61]
	;; [unrolled: 1-line block ×8, first 2 shown]
	v_add_lshl_u32 v28, v209, v208, 4
	ds_write_b128 v28, v[24:27]
	ds_write_b128 v28, v[20:23] offset:16
	ds_write_b128 v28, v[16:19] offset:32
	ds_write_b128 v28, v[12:15] offset:48
	ds_write_b128 v28, v[96:99] offset:64
	ds_write_b128 v28, v[64:67] offset:80
	ds_write_b128 v28, v[72:75] offset:96
	ds_write_b128 v28, v[76:79] offset:112
	ds_write_b128 v28, v[80:83] offset:128
	ds_write_b128 v28, v[68:71] offset:144
	ds_write_b128 v28, v[8:11] offset:160
	ds_write_b128 v28, v[4:7] offset:176
	ds_write_b128 v28, v[0:3] offset:192
.LBB0_7:
	s_or_b64 exec, exec, s[4:5]
	v_add_lshl_u32 v201, v209, v205, 4
	s_waitcnt lgkmcnt(0)
	s_barrier
	ds_read_b128 v[44:47], v201
	ds_read_b128 v[60:63], v201 offset:1456
	ds_read_b128 v[56:59], v201 offset:2912
	;; [unrolled: 1-line block ×4, first 2 shown]
	v_cmp_gt_u16_e64 s[2:3], 26, v205
	s_and_saveexec_b64 s[4:5], s[2:3]
	s_cbranch_execz .LBB0_9
; %bb.8:
	ds_read_b128 v[64:67], v201 offset:1040
	ds_read_b128 v[72:75], v201 offset:2496
	;; [unrolled: 1-line block ×5, first 2 shown]
.LBB0_9:
	s_or_b64 exec, exec, s[4:5]
	s_movk_i32 s4, 0x4f
	v_mul_lo_u16_sdwa v12, v205, s4 dst_sel:DWORD dst_unused:UNUSED_PAD src0_sel:BYTE_0 src1_sel:DWORD
	v_lshrrev_b16_e32 v137, 10, v12
	v_mul_lo_u16_e32 v12, 13, v137
	v_sub_u16_e32 v138, v205, v12
	v_mov_b32_e32 v12, 6
	v_lshlrev_b32_sdwa v13, v12, v138 dst_sel:DWORD dst_unused:UNUSED_PAD src0_sel:DWORD src1_sel:BYTE_0
	global_load_dwordx4 v[28:31], v13, s[8:9] offset:16
	global_load_dwordx4 v[40:43], v13, s[8:9]
	global_load_dwordx4 v[32:35], v13, s[8:9] offset:48
	global_load_dwordx4 v[36:39], v13, s[8:9] offset:32
	v_add_u16_e32 v13, 0x41, v205
	v_mul_lo_u16_sdwa v14, v13, s4 dst_sel:DWORD dst_unused:UNUSED_PAD src0_sel:BYTE_0 src1_sel:DWORD
	v_lshrrev_b16_e32 v203, 10, v14
	v_mul_lo_u16_e32 v14, 13, v203
	v_sub_u16_e32 v204, v13, v14
	v_lshlrev_b32_sdwa v84, v12, v204 dst_sel:DWORD dst_unused:UNUSED_PAD src0_sel:DWORD src1_sel:BYTE_0
	global_load_dwordx4 v[12:15], v84, s[8:9]
	global_load_dwordx4 v[24:27], v84, s[8:9] offset:16
	global_load_dwordx4 v[20:23], v84, s[8:9] offset:32
	;; [unrolled: 1-line block ×3, first 2 shown]
	s_mov_b32 s10, 0x134454ff
	s_mov_b32 s11, 0x3fee6f0e
	s_mov_b32 s23, 0xbfee6f0e
	s_mov_b32 s22, s10
	s_load_dwordx4 s[4:7], s[16:17], 0x0
	s_mov_b32 s16, 0x4755a5e
	s_mov_b32 s17, 0x3fe2cf23
	;; [unrolled: 1-line block ×6, first 2 shown]
	s_waitcnt vmcnt(0) lgkmcnt(0)
	s_barrier
	v_mul_f64 v[88:89], v[58:59], v[30:31]
	v_mul_f64 v[84:85], v[62:63], v[42:43]
	;; [unrolled: 1-line block ×14, first 2 shown]
	v_fma_f64 v[84:85], v[60:61], v[40:41], -v[84:85]
	v_fma_f64 v[86:87], v[62:63], v[40:41], v[86:87]
	v_fma_f64 v[116:117], v[56:57], v[28:29], -v[88:89]
	v_fma_f64 v[90:91], v[58:59], v[28:29], v[90:91]
	v_fma_f64 v[92:93], v[52:53], v[36:37], -v[92:93]
	v_fma_f64 v[94:95], v[54:55], v[36:37], v[94:95]
	v_fma_f64 v[96:97], v[48:49], v[32:33], -v[96:97]
	v_mul_f64 v[102:103], v[72:73], v[14:15]
	v_mul_f64 v[110:111], v[80:81], v[22:23]
	v_fma_f64 v[98:99], v[50:51], v[32:33], v[98:99]
	v_fma_f64 v[60:61], v[72:73], v[12:13], -v[100:101]
	v_fma_f64 v[56:57], v[76:77], v[24:25], -v[104:105]
	v_fma_f64 v[58:59], v[78:79], v[24:25], v[106:107]
	v_fma_f64 v[50:51], v[80:81], v[20:21], -v[108:109]
	v_fma_f64 v[48:49], v[68:69], v[16:17], -v[112:113]
	v_fma_f64 v[52:53], v[70:71], v[16:17], v[114:115]
	v_add_f64 v[68:69], v[44:45], v[84:85]
	v_add_f64 v[70:71], v[116:117], v[92:93]
	v_add_f64 v[76:77], v[84:85], -v[116:117]
	v_add_f64 v[78:79], v[96:97], -v[92:93]
	v_add_f64 v[100:101], v[84:85], v[96:97]
	v_add_f64 v[106:107], v[46:47], v[86:87]
	;; [unrolled: 1-line block ×3, first 2 shown]
	v_fma_f64 v[62:63], v[74:75], v[12:13], v[102:103]
	v_fma_f64 v[54:55], v[82:83], v[20:21], v[110:111]
	v_add_f64 v[72:73], v[86:87], -v[98:99]
	v_add_f64 v[74:75], v[90:91], -v[94:95]
	;; [unrolled: 1-line block ×7, first 2 shown]
	v_add_f64 v[120:121], v[86:87], v[98:99]
	v_add_f64 v[86:87], v[90:91], -v[86:87]
	v_add_f64 v[122:123], v[94:95], -v[98:99]
	v_add_f64 v[68:69], v[68:69], v[116:117]
	v_fma_f64 v[70:71], v[70:71], -0.5, v[44:45]
	v_add_f64 v[76:77], v[76:77], v[78:79]
	v_fma_f64 v[78:79], v[100:101], -0.5, v[44:45]
	;; [unrolled: 2-line block ×3, first 2 shown]
	v_add_f64 v[112:113], v[116:117], -v[92:93]
	v_add_f64 v[124:125], v[56:57], v[50:51]
	v_add_f64 v[131:132], v[60:61], v[48:49]
	;; [unrolled: 1-line block ×6, first 2 shown]
	v_fma_f64 v[104:105], v[120:121], -0.5, v[46:47]
	v_add_f64 v[114:115], v[86:87], v[122:123]
	v_add_f64 v[68:69], v[68:69], v[92:93]
	v_fma_f64 v[108:109], v[72:73], s[10:11], v[70:71]
	v_fma_f64 v[70:71], v[72:73], s[22:23], v[70:71]
	;; [unrolled: 1-line block ×4, first 2 shown]
	v_add_f64 v[90:91], v[90:91], v[94:95]
	v_fma_f64 v[122:123], v[110:111], s[22:23], v[100:101]
	v_fma_f64 v[100:101], v[110:111], s[10:11], v[100:101]
	v_add_f64 v[80:81], v[62:63], -v[52:53]
	v_add_f64 v[82:83], v[58:59], -v[54:55]
	;; [unrolled: 1-line block ×6, first 2 shown]
	v_fma_f64 v[44:45], v[124:125], -0.5, v[64:65]
	v_fma_f64 v[116:117], v[131:132], -0.5, v[64:65]
	;; [unrolled: 1-line block ×4, first 2 shown]
	v_fma_f64 v[124:125], v[112:113], s[10:11], v[104:105]
	v_fma_f64 v[104:105], v[112:113], s[22:23], v[104:105]
	v_add_f64 v[92:93], v[68:69], v[96:97]
	v_fma_f64 v[68:69], v[74:75], s[16:17], v[108:109]
	v_fma_f64 v[70:71], v[74:75], s[20:21], v[70:71]
	;; [unrolled: 1-line block ×4, first 2 shown]
	v_add_f64 v[94:95], v[90:91], v[98:99]
	v_fma_f64 v[78:79], v[112:113], s[20:21], v[122:123]
	v_fma_f64 v[90:91], v[112:113], s[16:17], v[100:101]
	v_add_f64 v[46:47], v[126:127], v[129:130]
	v_fma_f64 v[126:127], v[80:81], s[22:23], v[44:45]
	v_fma_f64 v[112:113], v[110:111], s[20:21], v[124:125]
	;; [unrolled: 1-line block ×10, first 2 shown]
	v_add_f64 v[70:71], v[56:57], -v[60:61]
	v_add_f64 v[72:73], v[50:51], -v[48:49]
	v_fma_f64 v[74:75], v[82:83], s[10:11], v[116:117]
	v_add_f64 v[76:77], v[62:63], -v[58:59]
	v_add_f64 v[78:79], v[52:53], -v[54:55]
	v_fma_f64 v[106:107], v[88:89], s[10:11], v[86:87]
	v_fma_f64 v[116:117], v[84:85], s[10:11], v[118:119]
	v_add_f64 v[122:123], v[58:59], -v[62:63]
	v_add_f64 v[124:125], v[54:55], -v[52:53]
	v_fma_f64 v[118:119], v[84:85], s[22:23], v[118:119]
	v_fma_f64 v[120:121], v[82:83], s[20:21], v[126:127]
	;; [unrolled: 1-line block ×3, first 2 shown]
	v_add_f64 v[70:71], v[70:71], v[72:73]
	v_fma_f64 v[72:73], v[80:81], s[20:21], v[74:75]
	v_add_f64 v[90:91], v[76:77], v[78:79]
	v_fma_f64 v[74:75], v[84:85], s[16:17], v[106:107]
	v_fma_f64 v[116:117], v[88:89], s[20:21], v[116:117]
	v_add_f64 v[122:123], v[122:123], v[124:125]
	v_fma_f64 v[118:119], v[88:89], s[16:17], v[118:119]
	v_fma_f64 v[76:77], v[46:47], s[18:19], v[120:121]
	v_fma_f64 v[68:69], v[70:71], s[18:19], v[68:69]
	v_fma_f64 v[72:73], v[70:71], s[18:19], v[72:73]
	v_fma_f64 v[106:107], v[114:115], s[18:19], v[112:113]
	v_fma_f64 v[78:79], v[90:91], s[18:19], v[74:75]
	v_fma_f64 v[110:111], v[114:115], s[18:19], v[110:111]
	v_fma_f64 v[70:71], v[122:123], s[18:19], v[116:117]
	v_fma_f64 v[74:75], v[122:123], s[18:19], v[118:119]
	v_mul_u32_u24_e32 v112, 0x41, v137
	v_add_u32_sdwa v112, v112, v138 dst_sel:DWORD dst_unused:UNUSED_PAD src0_sel:DWORD src1_sel:BYTE_0
	v_add_lshl_u32 v210, v209, v112, 4
	ds_write_b128 v210, v[92:95]
	ds_write_b128 v210, v[96:99] offset:208
	ds_write_b128 v210, v[104:107] offset:416
	;; [unrolled: 1-line block ×4, first 2 shown]
	s_and_saveexec_b64 s[20:21], s[2:3]
	s_cbranch_execz .LBB0_11
; %bb.10:
	v_add_f64 v[62:63], v[66:67], v[62:63]
	v_add_f64 v[60:61], v[64:65], v[60:61]
	v_mul_f64 v[88:89], v[88:89], s[10:11]
	v_mul_f64 v[64:65], v[80:81], s[10:11]
	v_mul_f64 v[66:67], v[82:83], s[16:17]
	v_mul_f64 v[80:81], v[84:85], s[16:17]
	v_add_f64 v[58:59], v[62:63], v[58:59]
	v_add_f64 v[56:57], v[60:61], v[56:57]
	v_add_f64 v[82:83], v[86:87], -v[88:89]
	v_add_f64 v[44:45], v[44:45], v[64:65]
	v_mul_f64 v[60:61], v[46:47], s[18:19]
	v_mul_f64 v[46:47], v[90:91], s[18:19]
	v_add_f64 v[54:55], v[58:59], v[54:55]
	v_add_f64 v[56:57], v[56:57], v[50:51]
	v_add_f64 v[62:63], v[82:83], -v[80:81]
	v_add_f64 v[44:45], v[66:67], v[44:45]
	v_add_f64 v[50:51], v[54:55], v[52:53]
	;; [unrolled: 1-line block ×5, first 2 shown]
	v_mul_u32_u24_e32 v52, 0x41, v203
	v_add_u32_sdwa v52, v52, v204 dst_sel:DWORD dst_unused:UNUSED_PAD src0_sel:DWORD src1_sel:BYTE_0
	v_add_lshl_u32 v52, v209, v52, 4
	ds_write_b128 v52, v[68:71] offset:416
	ds_write_b128 v52, v[72:75] offset:624
	ds_write_b128 v52, v[48:51]
	ds_write_b128 v52, v[44:47] offset:208
	ds_write_b128 v52, v[76:79] offset:832
.LBB0_11:
	s_or_b64 exec, exec, s[20:21]
	v_mov_b32_e32 v45, s9
	s_movk_i32 s10, 0x60
	v_mov_b32_e32 v44, s8
	v_mad_u64_u32 v[80:81], s[8:9], v205, s10, v[44:45]
	s_waitcnt lgkmcnt(0)
	s_barrier
	global_load_dwordx4 v[56:59], v[80:81], off offset:832
	global_load_dwordx4 v[52:55], v[80:81], off offset:848
	;; [unrolled: 1-line block ×6, first 2 shown]
	ds_read_b128 v[80:83], v201
	ds_read_b128 v[84:87], v201 offset:1040
	ds_read_b128 v[88:91], v201 offset:2080
	;; [unrolled: 1-line block ×6, first 2 shown]
	s_mov_b32 s10, 0x37e14327
	s_mov_b32 s8, 0x36b3c0b5
	;; [unrolled: 1-line block ×16, first 2 shown]
	v_lshl_add_u32 v202, v205, 4, v207
	s_waitcnt vmcnt(5) lgkmcnt(5)
	v_mul_f64 v[108:109], v[86:87], v[58:59]
	v_mul_f64 v[110:111], v[84:85], v[58:59]
	s_waitcnt vmcnt(4) lgkmcnt(4)
	v_mul_f64 v[112:113], v[90:91], v[54:55]
	v_mul_f64 v[114:115], v[88:89], v[54:55]
	;; [unrolled: 3-line block ×3, first 2 shown]
	s_waitcnt vmcnt(0)
	v_mul_f64 v[129:130], v[102:103], v[66:67]
	v_mul_f64 v[131:132], v[100:101], v[66:67]
	;; [unrolled: 1-line block ×6, first 2 shown]
	v_fma_f64 v[84:85], v[84:85], v[56:57], -v[108:109]
	v_fma_f64 v[86:87], v[86:87], v[56:57], v[110:111]
	v_fma_f64 v[88:89], v[88:89], v[52:53], -v[112:113]
	v_fma_f64 v[90:91], v[90:91], v[52:53], v[114:115]
	;; [unrolled: 2-line block ×6, first 2 shown]
	v_add_f64 v[108:109], v[84:85], v[104:105]
	v_add_f64 v[110:111], v[86:87], v[106:107]
	v_add_f64 v[84:85], v[84:85], -v[104:105]
	v_add_f64 v[86:87], v[86:87], -v[106:107]
	v_add_f64 v[104:105], v[88:89], v[100:101]
	v_add_f64 v[106:107], v[90:91], v[102:103]
	v_add_f64 v[88:89], v[88:89], -v[100:101]
	v_add_f64 v[90:91], v[90:91], -v[102:103]
	;; [unrolled: 4-line block ×4, first 2 shown]
	v_add_f64 v[108:109], v[108:109], -v[100:101]
	v_add_f64 v[110:111], v[110:111], -v[102:103]
	;; [unrolled: 1-line block ×4, first 2 shown]
	v_add_f64 v[116:117], v[92:93], v[88:89]
	v_add_f64 v[118:119], v[94:95], v[90:91]
	v_add_f64 v[120:121], v[92:93], -v[88:89]
	v_add_f64 v[122:123], v[94:95], -v[90:91]
	;; [unrolled: 1-line block ×4, first 2 shown]
	v_add_f64 v[96:97], v[100:101], v[96:97]
	v_add_f64 v[98:99], v[102:103], v[98:99]
	v_add_f64 v[92:93], v[84:85], -v[92:93]
	v_add_f64 v[94:95], v[86:87], -v[94:95]
	v_add_f64 v[84:85], v[116:117], v[84:85]
	v_add_f64 v[86:87], v[118:119], v[86:87]
	v_mul_f64 v[100:101], v[108:109], s[10:11]
	v_mul_f64 v[102:103], v[110:111], s[10:11]
	;; [unrolled: 1-line block ×8, first 2 shown]
	v_add_f64 v[80:81], v[80:81], v[96:97]
	v_add_f64 v[82:83], v[82:83], v[98:99]
	v_fma_f64 v[108:109], v[112:113], s[22:23], -v[108:109]
	v_fma_f64 v[110:111], v[114:115], s[22:23], -v[110:111]
	s_mov_b32 s23, 0xbfe77f67
	v_fma_f64 v[124:125], v[92:93], s[24:25], v[116:117]
	v_fma_f64 v[126:127], v[94:95], s[24:25], v[118:119]
	s_mov_b32 s25, 0xbfd5d0dc
	v_fma_f64 v[104:105], v[104:105], s[8:9], v[100:101]
	v_fma_f64 v[106:107], v[106:107], s[8:9], v[102:103]
	v_fma_f64 v[88:89], v[88:89], s[16:17], -v[116:117]
	v_fma_f64 v[90:91], v[90:91], s[16:17], -v[118:119]
	;; [unrolled: 1-line block ×6, first 2 shown]
	v_fma_f64 v[96:97], v[96:97], s[18:19], v[80:81]
	v_fma_f64 v[98:99], v[98:99], s[18:19], v[82:83]
	v_fma_f64 v[112:113], v[84:85], s[26:27], v[124:125]
	v_fma_f64 v[114:115], v[86:87], s[26:27], v[126:127]
	v_fma_f64 v[116:117], v[84:85], s[26:27], v[88:89]
	v_fma_f64 v[118:119], v[86:87], s[26:27], v[90:91]
	v_fma_f64 v[120:121], v[84:85], s[26:27], v[92:93]
	v_fma_f64 v[122:123], v[86:87], s[26:27], v[94:95]
	v_add_f64 v[104:105], v[104:105], v[96:97]
	v_add_f64 v[106:107], v[106:107], v[98:99]
	;; [unrolled: 1-line block ×7, first 2 shown]
	v_add_f64 v[86:87], v[106:107], -v[112:113]
	v_add_f64 v[88:89], v[122:123], v[100:101]
	v_add_f64 v[90:91], v[102:103], -v[120:121]
	v_add_f64 v[92:93], v[96:97], -v[118:119]
	v_add_f64 v[94:95], v[116:117], v[98:99]
	v_add_f64 v[96:97], v[118:119], v[96:97]
	v_add_f64 v[98:99], v[98:99], -v[116:117]
	v_add_f64 v[100:101], v[100:101], -v[122:123]
	v_add_f64 v[102:103], v[120:121], v[102:103]
	v_add_f64 v[104:105], v[104:105], -v[114:115]
	v_add_f64 v[106:107], v[112:113], v[106:107]
	ds_write_b128 v202, v[80:83]
	ds_write_b128 v202, v[84:87] offset:1040
	ds_write_b128 v202, v[88:91] offset:2080
	;; [unrolled: 1-line block ×6, first 2 shown]
	s_waitcnt lgkmcnt(0)
	s_barrier
	s_and_saveexec_b64 s[8:9], s[0:1]
	s_cbranch_execz .LBB0_13
; %bb.12:
	v_mov_b32_e32 v108, s15
	v_add_co_u32_e32 v141, vcc, s14, v206
	v_addc_co_u32_e32 v154, vcc, 0, v108, vcc
	v_add_co_u32_e32 v157, vcc, 0x1c70, v141
	v_addc_co_u32_e32 v158, vcc, 0, v154, vcc
	s_movk_i32 s10, 0x2000
	v_add_co_u32_e32 v133, vcc, s10, v141
	v_addc_co_u32_e32 v134, vcc, 0, v154, vcc
	s_movk_i32 s10, 0x3000
	v_add_co_u32_e32 v149, vcc, s10, v141
	v_addc_co_u32_e32 v150, vcc, 0, v154, vcc
	v_add_co_u32_e32 v153, vcc, 0x1000, v141
	global_load_dwordx4 v[108:111], v[157:158], off offset:560
	global_load_dwordx4 v[112:115], v[157:158], off offset:1120
	;; [unrolled: 1-line block ×6, first 2 shown]
	s_nop 0
	global_load_dwordx4 v[133:136], v[133:134], off offset:3568
	s_nop 0
	global_load_dwordx4 v[137:140], v[149:150], off offset:32
	global_load_dwordx4 v[141:144], v[149:150], off offset:592
	global_load_dwordx4 v[145:148], v[149:150], off offset:1152
	s_nop 0
	global_load_dwordx4 v[149:152], v[149:150], off offset:1712
	v_addc_co_u32_e32 v154, vcc, 0, v154, vcc
	global_load_dwordx4 v[153:156], v[153:154], off offset:3184
	s_nop 0
	global_load_dwordx4 v[157:160], v[157:158], off offset:3920
	ds_read_b128 v[161:164], v202
	ds_read_b128 v[165:168], v202 offset:560
	ds_read_b128 v[169:172], v202 offset:1120
	;; [unrolled: 1-line block ×12, first 2 shown]
	s_waitcnt vmcnt(12) lgkmcnt(11)
	v_mul_f64 v[223:224], v[167:168], v[110:111]
	v_mul_f64 v[110:111], v[165:166], v[110:111]
	s_waitcnt vmcnt(11) lgkmcnt(10)
	v_mul_f64 v[225:226], v[171:172], v[114:115]
	v_mul_f64 v[114:115], v[169:170], v[114:115]
	;; [unrolled: 3-line block ×8, first 2 shown]
	s_waitcnt vmcnt(1)
	v_mul_f64 v[151:152], v[163:164], v[155:156]
	v_mul_f64 v[155:156], v[161:162], v[155:156]
	s_waitcnt vmcnt(0)
	v_mul_f64 v[247:248], v[191:192], v[159:160]
	v_mul_f64 v[159:160], v[189:190], v[159:160]
	;; [unrolled: 1-line block ×6, first 2 shown]
	v_fma_f64 v[165:166], v[165:166], v[108:109], -v[223:224]
	v_fma_f64 v[167:168], v[167:168], v[108:109], v[110:111]
	v_mul_f64 v[241:242], v[217:218], v[147:148]
	v_mul_f64 v[147:148], v[215:216], v[147:148]
	v_fma_f64 v[108:109], v[169:170], v[112:113], -v[225:226]
	v_fma_f64 v[110:111], v[171:172], v[112:113], v[114:115]
	v_fma_f64 v[112:113], v[173:174], v[116:117], -v[227:228]
	v_fma_f64 v[114:115], v[175:176], v[116:117], v[118:119]
	;; [unrolled: 2-line block ×9, first 2 shown]
	ds_write_b128 v202, v[165:168] offset:560
	ds_write_b128 v202, v[108:111] offset:1120
	;; [unrolled: 1-line block ×4, first 2 shown]
	ds_write_b128 v202, v[133:136]
	v_fma_f64 v[108:109], v[211:212], v[141:142], -v[239:240]
	v_fma_f64 v[110:111], v[213:214], v[141:142], v[143:144]
	v_fma_f64 v[112:113], v[215:216], v[145:146], -v[241:242]
	v_fma_f64 v[114:115], v[217:218], v[145:146], v[147:148]
	;; [unrolled: 2-line block ×3, first 2 shown]
	ds_write_b128 v202, v[120:123] offset:2800
	ds_write_b128 v202, v[124:127] offset:3360
	;; [unrolled: 1-line block ×8, first 2 shown]
.LBB0_13:
	s_or_b64 exec, exec, s[8:9]
	s_waitcnt lgkmcnt(0)
	s_barrier
	s_and_saveexec_b64 s[8:9], s[0:1]
	s_cbranch_execz .LBB0_15
; %bb.14:
	ds_read_b128 v[80:83], v202
	ds_read_b128 v[84:87], v202 offset:560
	ds_read_b128 v[88:91], v202 offset:1120
	;; [unrolled: 1-line block ×12, first 2 shown]
.LBB0_15:
	s_or_b64 exec, exec, s[8:9]
	s_waitcnt lgkmcnt(0)
	v_add_f64 v[133:134], v[86:87], -v[2:3]
	v_add_f64 v[131:132], v[86:87], v[2:3]
	s_mov_b32 s8, 0xb2365da1
	s_mov_b32 s16, 0x2ef20147
	s_mov_b32 s20, 0x24c2f84
	s_mov_b32 s18, 0x93053d00
	s_mov_b32 s9, 0xbfd6b1d8
	s_mov_b32 s17, 0xbfedeba7
	s_mov_b32 s21, 0xbfe5384d
	s_mov_b32 s19, 0xbfef11f4
	v_add_f64 v[129:130], v[84:85], v[0:1]
	v_add_f64 v[141:142], v[84:85], -v[0:1]
	v_mul_f64 v[177:178], v[133:134], s[16:17]
	v_mul_f64 v[179:180], v[131:132], s[8:9]
	;; [unrolled: 1-line block ×3, first 2 shown]
	v_add_f64 v[139:140], v[90:91], -v[6:7]
	v_add_f64 v[137:138], v[90:91], v[6:7]
	v_mul_f64 v[124:125], v[131:132], s[18:19]
	s_mov_b32 s10, 0xd0032e0c
	s_mov_b32 s22, 0x4bc48dbf
	s_mov_b32 s42, 0x66966769
	s_mov_b32 s11, 0xbfe7f3cc
	s_mov_b32 s39, 0x3fe5384d
	s_mov_b32 s38, s20
	s_mov_b32 s23, 0xbfcea1e5
	s_mov_b32 s47, 0x3fcea1e5
	s_mov_b32 s46, s22
	s_mov_b32 s43, 0x3fefc445
	v_mul_f64 v[110:111], v[131:132], s[10:11]
	v_fma_f64 v[112:113], v[129:130], s[8:9], -v[177:178]
	v_fma_f64 v[114:115], v[141:142], s[16:17], v[179:180]
	v_fma_f64 v[116:117], v[129:130], s[10:11], v[108:109]
	v_add_f64 v[135:136], v[88:89], v[4:5]
	v_add_f64 v[149:150], v[88:89], -v[4:5]
	v_mul_f64 v[181:182], v[139:140], s[38:39]
	v_mul_f64 v[183:184], v[137:138], s[10:11]
	;; [unrolled: 1-line block ×3, first 2 shown]
	v_fma_f64 v[143:144], v[141:142], s[46:47], v[124:125]
	s_mov_b32 s24, 0xebaa3ed8
	s_mov_b32 s25, 0x3fbedb7d
	v_fma_f64 v[118:119], v[141:142], s[38:39], v[110:111]
	v_add_f64 v[112:113], v[80:81], v[112:113]
	v_add_f64 v[114:115], v[82:83], v[114:115]
	;; [unrolled: 1-line block ×3, first 2 shown]
	v_mul_f64 v[120:121], v[133:134], s[22:23]
	v_fma_f64 v[145:146], v[135:136], s[10:11], -v[181:182]
	v_fma_f64 v[147:148], v[149:150], s[38:39], v[183:184]
	v_fma_f64 v[151:152], v[135:136], s[24:25], v[126:127]
	v_add_f64 v[153:154], v[82:83], v[143:144]
	v_mul_f64 v[143:144], v[137:138], s[24:25]
	s_mov_b32 s44, 0x4267c47c
	s_mov_b32 s28, 0xe00740e9
	;; [unrolled: 1-line block ×6, first 2 shown]
	v_fma_f64 v[108:109], v[129:130], s[10:11], -v[108:109]
	v_add_f64 v[118:119], v[82:83], v[118:119]
	v_fma_f64 v[110:111], v[141:142], s[20:21], v[110:111]
	v_fma_f64 v[122:123], v[129:130], s[18:19], v[120:121]
	v_add_f64 v[112:113], v[145:146], v[112:113]
	v_add_f64 v[114:115], v[147:148], v[114:115]
	;; [unrolled: 1-line block ×3, first 2 shown]
	v_mul_f64 v[151:152], v[139:140], s[44:45]
	v_mul_f64 v[155:156], v[137:138], s[28:29]
	v_fma_f64 v[145:146], v[149:150], s[26:27], v[143:144]
	v_add_f64 v[147:148], v[94:95], -v[10:11]
	s_mov_b32 s31, 0xbfddbe06
	s_mov_b32 s30, s44
	v_add_f64 v[108:109], v[80:81], v[108:109]
	v_fma_f64 v[120:121], v[129:130], s[18:19], -v[120:121]
	v_fma_f64 v[124:125], v[141:142], s[22:23], v[124:125]
	v_add_f64 v[110:111], v[82:83], v[110:111]
	v_add_f64 v[122:123], v[80:81], v[122:123]
	v_fma_f64 v[126:127], v[135:136], s[24:25], -v[126:127]
	v_fma_f64 v[157:158], v[149:150], s[42:43], v[143:144]
	v_fma_f64 v[159:160], v[135:136], s[28:29], v[151:152]
	;; [unrolled: 1-line block ×3, first 2 shown]
	v_add_f64 v[118:119], v[145:146], v[118:119]
	v_add_f64 v[143:144], v[92:93], v[8:9]
	;; [unrolled: 1-line block ×3, first 2 shown]
	v_mul_f64 v[185:186], v[147:148], s[44:45]
	s_mov_b32 s36, 0x42a4c3d2
	s_mov_b32 s34, 0x1ea71119
	;; [unrolled: 1-line block ×4, first 2 shown]
	v_add_f64 v[120:121], v[80:81], v[120:121]
	v_add_f64 v[124:125], v[82:83], v[124:125]
	v_add_f64 v[108:109], v[126:127], v[108:109]
	v_add_f64 v[110:111], v[157:158], v[110:111]
	v_add_f64 v[122:123], v[159:160], v[122:123]
	v_add_f64 v[126:127], v[161:162], v[153:154]
	v_fma_f64 v[151:152], v[135:136], s[28:29], -v[151:152]
	v_fma_f64 v[153:154], v[149:150], s[44:45], v[155:156]
	v_add_f64 v[155:156], v[92:93], -v[8:9]
	v_fma_f64 v[157:158], v[143:144], s[28:29], -v[185:186]
	v_mul_f64 v[159:160], v[147:148], s[36:37]
	v_mul_f64 v[161:162], v[145:146], s[34:35]
	s_mov_b32 s49, 0x3fea55e2
	s_mov_b32 s48, s36
	v_mul_f64 v[187:188], v[145:146], s[28:29]
	v_add_f64 v[120:121], v[151:152], v[120:121]
	v_add_f64 v[124:125], v[153:154], v[124:125]
	;; [unrolled: 1-line block ×3, first 2 shown]
	v_fma_f64 v[151:152], v[143:144], s[34:35], v[159:160]
	v_fma_f64 v[153:154], v[155:156], s[48:49], v[161:162]
	;; [unrolled: 1-line block ×3, first 2 shown]
	v_add_f64 v[157:158], v[98:99], -v[78:79]
	v_mul_f64 v[167:168], v[145:146], s[10:11]
	v_fma_f64 v[163:164], v[155:156], s[44:45], v[187:188]
	v_fma_f64 v[159:160], v[143:144], s[34:35], -v[159:160]
	v_mul_f64 v[165:166], v[147:148], s[20:21]
	v_add_f64 v[116:117], v[151:152], v[116:117]
	v_add_f64 v[118:119], v[153:154], v[118:119]
	;; [unrolled: 1-line block ×5, first 2 shown]
	v_fma_f64 v[161:162], v[155:156], s[38:39], v[167:168]
	v_mul_f64 v[169:170], v[157:158], s[46:47]
	v_add_f64 v[114:115], v[163:164], v[114:115]
	v_add_f64 v[108:109], v[159:160], v[108:109]
	v_fma_f64 v[159:160], v[143:144], s[10:11], v[165:166]
	v_mul_f64 v[189:190], v[157:158], s[26:27]
	v_add_f64 v[163:164], v[96:97], -v[76:77]
	v_mul_f64 v[191:192], v[153:154], s[24:25]
	v_fma_f64 v[165:166], v[143:144], s[10:11], -v[165:166]
	v_fma_f64 v[167:168], v[155:156], s[20:21], v[167:168]
	v_add_f64 v[126:127], v[161:162], v[126:127]
	v_fma_f64 v[161:162], v[151:152], s[18:19], v[169:170]
	v_mul_f64 v[171:172], v[153:154], s[18:19]
	v_fma_f64 v[173:174], v[151:152], s[24:25], -v[189:190]
	v_add_f64 v[122:123], v[159:160], v[122:123]
	v_fma_f64 v[159:160], v[163:164], s[26:27], v[191:192]
	v_add_f64 v[120:121], v[165:166], v[120:121]
	v_add_f64 v[124:125], v[167:168], v[124:125]
	v_fma_f64 v[167:168], v[151:152], s[18:19], -v[169:170]
	v_add_f64 v[116:117], v[161:162], v[116:117]
	v_add_f64 v[165:166], v[102:103], -v[74:75]
	v_add_f64 v[161:162], v[102:103], v[74:75]
	v_fma_f64 v[175:176], v[163:164], s[22:23], v[171:172]
	v_add_f64 v[112:113], v[173:174], v[112:113]
	v_fma_f64 v[169:170], v[163:164], s[46:47], v[171:172]
	v_add_f64 v[114:115], v[159:160], v[114:115]
	v_mul_f64 v[173:174], v[157:158], s[48:49]
	v_add_f64 v[108:109], v[167:168], v[108:109]
	v_mul_f64 v[167:168], v[153:154], s[34:35]
	v_add_f64 v[159:160], v[100:101], v[72:73]
	v_add_f64 v[171:172], v[100:101], -v[72:73]
	v_mul_f64 v[193:194], v[165:166], s[46:47]
	v_mul_f64 v[195:196], v[161:162], s[18:19]
	;; [unrolled: 1-line block ×3, first 2 shown]
	v_add_f64 v[118:119], v[175:176], v[118:119]
	v_add_f64 v[110:111], v[169:170], v[110:111]
	v_fma_f64 v[169:170], v[151:152], s[34:35], v[173:174]
	v_mul_f64 v[175:176], v[165:166], s[44:45]
	v_fma_f64 v[199:200], v[163:164], s[36:37], v[167:168]
	v_fma_f64 v[173:174], v[151:152], s[34:35], -v[173:174]
	v_fma_f64 v[167:168], v[163:164], s[48:49], v[167:168]
	v_fma_f64 v[211:212], v[159:160], s[18:19], -v[193:194]
	v_fma_f64 v[213:214], v[171:172], s[46:47], v[195:196]
	v_fma_f64 v[215:216], v[171:172], s[30:31], v[197:198]
	v_add_f64 v[122:123], v[169:170], v[122:123]
	v_fma_f64 v[169:170], v[159:160], s[28:29], v[175:176]
	v_fma_f64 v[217:218], v[171:172], s[44:45], v[197:198]
	v_add_f64 v[120:121], v[173:174], v[120:121]
	v_add_f64 v[124:125], v[167:168], v[124:125]
	;; [unrolled: 1-line block ×4, first 2 shown]
	v_mul_f64 v[211:212], v[165:166], s[16:17]
	v_add_f64 v[118:119], v[215:216], v[118:119]
	v_mul_f64 v[213:214], v[161:162], s[8:9]
	v_fma_f64 v[215:216], v[159:160], s[28:29], -v[175:176]
	v_add_f64 v[173:174], v[106:107], -v[70:71]
	v_add_f64 v[167:168], v[106:107], v[70:71]
	s_mov_b32 s51, 0x3fedeba7
	s_mov_b32 s50, s16
	v_add_f64 v[126:127], v[199:200], v[126:127]
	v_add_f64 v[116:117], v[169:170], v[116:117]
	v_fma_f64 v[219:220], v[159:160], s[8:9], v[211:212]
	v_fma_f64 v[221:222], v[171:172], s[50:51], v[213:214]
	v_add_f64 v[169:170], v[104:105], v[68:69]
	v_add_f64 v[175:176], v[104:105], -v[68:69]
	v_mul_f64 v[197:198], v[173:174], s[48:49]
	v_mul_f64 v[199:200], v[167:168], s[34:35]
	v_add_f64 v[215:216], v[215:216], v[108:109]
	v_add_f64 v[217:218], v[217:218], v[110:111]
	v_fma_f64 v[108:109], v[159:160], s[8:9], -v[211:212]
	v_fma_f64 v[110:111], v[171:172], s[16:17], v[213:214]
	v_add_f64 v[211:212], v[219:220], v[122:123]
	v_add_f64 v[213:214], v[221:222], v[126:127]
	v_fma_f64 v[122:123], v[169:170], s[34:35], -v[197:198]
	v_fma_f64 v[126:127], v[175:176], s[48:49], v[199:200]
	v_mul_f64 v[219:220], v[173:174], s[16:17]
	v_mul_f64 v[221:222], v[167:168], s[8:9]
	v_add_f64 v[223:224], v[108:109], v[120:121]
	v_add_f64 v[225:226], v[110:111], v[124:125]
	v_mul_f64 v[108:109], v[173:174], s[42:43]
	v_mul_f64 v[110:111], v[167:168], s[24:25]
	v_add_f64 v[120:121], v[122:123], v[112:113]
	v_add_f64 v[122:123], v[126:127], v[114:115]
	v_fma_f64 v[112:113], v[169:170], s[8:9], v[219:220]
	v_fma_f64 v[114:115], v[175:176], s[50:51], v[221:222]
	v_fma_f64 v[124:125], v[169:170], s[8:9], -v[219:220]
	v_fma_f64 v[126:127], v[175:176], s[16:17], v[221:222]
	v_fma_f64 v[219:220], v[169:170], s[24:25], v[108:109]
	;; [unrolled: 1-line block ×3, first 2 shown]
	v_fma_f64 v[227:228], v[169:170], s[24:25], -v[108:109]
	v_fma_f64 v[229:230], v[175:176], s[42:43], v[110:111]
	v_add_f64 v[108:109], v[112:113], v[116:117]
	v_add_f64 v[110:111], v[114:115], v[118:119]
	;; [unrolled: 1-line block ×8, first 2 shown]
	s_barrier
	s_and_saveexec_b64 s[40:41], s[0:1]
	s_cbranch_execz .LBB0_17
; %bb.16:
	v_mul_f64 v[211:212], v[141:142], s[16:17]
	v_mul_f64 v[213:214], v[129:130], s[8:9]
	;; [unrolled: 1-line block ×8, first 2 shown]
	v_add_f64 v[179:180], v[179:180], -v[211:212]
	v_add_f64 v[177:178], v[213:214], v[177:178]
	v_add_f64 v[183:184], v[183:184], -v[217:218]
	v_mul_f64 v[227:228], v[171:172], s[46:47]
	v_mul_f64 v[231:232], v[175:176], s[48:49]
	;; [unrolled: 1-line block ×3, first 2 shown]
	v_add_f64 v[187:188], v[187:188], -v[221:222]
	v_add_f64 v[181:182], v[215:216], v[181:182]
	v_add_f64 v[179:180], v[82:83], v[179:180]
	v_add_f64 v[177:178], v[80:81], v[177:178]
	v_add_f64 v[185:186], v[219:220], v[185:186]
	v_fma_f64 v[219:220], v[131:132], s[24:25], v[237:238]
	v_mul_f64 v[223:224], v[151:152], s[24:25]
	v_mul_f64 v[211:212], v[159:160], s[18:19]
	;; [unrolled: 1-line block ×4, first 2 shown]
	v_add_f64 v[179:180], v[183:184], v[179:180]
	v_mul_f64 v[183:184], v[133:134], s[26:27]
	v_mul_f64 v[221:222], v[139:140], s[22:23]
	v_add_f64 v[191:192], v[191:192], -v[225:226]
	v_add_f64 v[177:178], v[181:182], v[177:178]
	v_add_f64 v[181:182], v[199:200], -v[231:232]
	v_fma_f64 v[199:200], v[137:138], s[18:19], v[235:236]
	v_add_f64 v[219:220], v[82:83], v[219:220]
	v_add_f64 v[179:180], v[187:188], v[179:180]
	v_add_f64 v[187:188], v[195:196], -v[227:228]
	v_fma_f64 v[195:196], v[129:130], s[24:25], -v[183:184]
	v_mul_f64 v[213:214], v[163:164], s[44:45]
	v_mul_f64 v[215:216], v[147:148], s[50:51]
	v_add_f64 v[189:190], v[223:224], v[189:190]
	v_add_f64 v[177:178], v[185:186], v[177:178]
	;; [unrolled: 1-line block ×5, first 2 shown]
	v_fma_f64 v[193:194], v[135:136], s[18:19], -v[221:222]
	v_add_f64 v[195:196], v[80:81], v[195:196]
	v_fma_f64 v[197:198], v[145:146], s[8:9], v[217:218]
	v_add_f64 v[199:200], v[199:200], v[219:220]
	v_mul_f64 v[233:234], v[171:172], s[36:37]
	v_add_f64 v[177:178], v[189:190], v[177:178]
	v_add_f64 v[179:180], v[187:188], v[179:180]
	v_mul_f64 v[187:188], v[157:158], s[44:45]
	v_fma_f64 v[189:190], v[143:144], s[8:9], -v[215:216]
	v_fma_f64 v[211:212], v[131:132], s[24:25], -v[237:238]
	v_add_f64 v[193:194], v[193:194], v[195:196]
	v_fma_f64 v[195:196], v[153:154], s[28:29], v[213:214]
	v_add_f64 v[197:198], v[197:198], v[199:200]
	v_add_f64 v[86:87], v[82:83], v[86:87]
	;; [unrolled: 1-line block ×3, first 2 shown]
	v_mul_f64 v[199:200], v[175:176], s[20:21]
	v_mul_f64 v[219:220], v[165:166], s[36:37]
	v_fma_f64 v[223:224], v[151:152], s[28:29], -v[187:188]
	v_fma_f64 v[225:226], v[137:138], s[18:19], -v[235:236]
	v_add_f64 v[211:212], v[82:83], v[211:212]
	v_add_f64 v[189:190], v[189:190], v[193:194]
	v_fma_f64 v[193:194], v[161:162], s[34:35], v[233:234]
	v_add_f64 v[195:196], v[195:196], v[197:198]
	v_add_f64 v[86:87], v[86:87], v[90:91]
	;; [unrolled: 1-line block ×4, first 2 shown]
	v_mul_f64 v[191:192], v[173:174], s[20:21]
	v_fma_f64 v[197:198], v[159:160], s[34:35], -v[219:220]
	v_fma_f64 v[217:218], v[145:146], s[8:9], -v[217:218]
	v_add_f64 v[211:212], v[225:226], v[211:212]
	v_add_f64 v[189:190], v[223:224], v[189:190]
	v_fma_f64 v[223:224], v[167:168], s[10:11], v[199:200]
	v_add_f64 v[193:194], v[193:194], v[195:196]
	v_add_f64 v[86:87], v[86:87], v[94:95]
	;; [unrolled: 1-line block ×4, first 2 shown]
	v_fma_f64 v[181:182], v[169:170], s[10:11], -v[191:192]
	v_fma_f64 v[195:196], v[153:154], s[28:29], -v[213:214]
	v_fma_f64 v[213:214], v[129:130], s[24:25], v[183:184]
	v_add_f64 v[211:212], v[217:218], v[211:212]
	v_add_f64 v[189:190], v[197:198], v[189:190]
	;; [unrolled: 1-line block ×3, first 2 shown]
	v_mul_f64 v[193:194], v[141:142], s[36:37]
	v_add_f64 v[86:87], v[86:87], v[98:99]
	v_add_f64 v[96:97], v[84:85], v[96:97]
	;; [unrolled: 1-line block ×3, first 2 shown]
	v_fma_f64 v[185:186], v[161:162], s[34:35], -v[233:234]
	v_fma_f64 v[197:198], v[135:136], s[18:19], v[221:222]
	v_add_f64 v[213:214], v[80:81], v[213:214]
	v_add_f64 v[195:196], v[195:196], v[211:212]
	;; [unrolled: 1-line block ×3, first 2 shown]
	v_mul_f64 v[189:190], v[133:134], s[36:37]
	v_mul_f64 v[211:212], v[149:150], s[16:17]
	v_fma_f64 v[217:218], v[131:132], s[34:35], v[193:194]
	v_fma_f64 v[193:194], v[131:132], s[34:35], -v[193:194]
	v_add_f64 v[86:87], v[86:87], v[102:103]
	v_add_f64 v[96:97], v[96:97], v[100:101]
	v_fma_f64 v[215:216], v[143:144], s[8:9], v[215:216]
	v_add_f64 v[197:198], v[197:198], v[213:214]
	v_add_f64 v[185:186], v[185:186], v[195:196]
	v_mul_f64 v[195:196], v[139:140], s[16:17]
	v_fma_f64 v[213:214], v[129:130], s[34:35], -v[189:190]
	v_mul_f64 v[221:222], v[155:156], s[22:23]
	v_fma_f64 v[223:224], v[137:138], s[8:9], v[211:212]
	v_mul_f64 v[227:228], v[163:164], s[38:39]
	v_fma_f64 v[211:212], v[137:138], s[8:9], -v[211:212]
	v_add_f64 v[193:194], v[82:83], v[193:194]
	v_fma_f64 v[189:190], v[129:130], s[34:35], v[189:190]
	v_mul_f64 v[141:142], v[141:142], s[30:31]
	v_mul_f64 v[100:101], v[133:134], s[30:31]
	v_add_f64 v[86:87], v[86:87], v[106:107]
	v_add_f64 v[96:97], v[96:97], v[104:105]
	;; [unrolled: 1-line block ×3, first 2 shown]
	v_fma_f64 v[187:188], v[151:152], s[28:29], v[187:188]
	v_add_f64 v[197:198], v[215:216], v[197:198]
	v_mul_f64 v[215:216], v[147:148], s[22:23]
	v_fma_f64 v[225:226], v[135:136], s[8:9], -v[195:196]
	v_fma_f64 v[229:230], v[145:146], s[18:19], v[221:222]
	v_fma_f64 v[231:232], v[153:154], s[10:11], v[227:228]
	v_fma_f64 v[221:222], v[145:146], s[18:19], -v[221:222]
	v_add_f64 v[193:194], v[211:212], v[193:194]
	v_fma_f64 v[195:196], v[135:136], s[8:9], v[195:196]
	v_add_f64 v[189:190], v[80:81], v[189:190]
	v_fma_f64 v[211:212], v[153:154], s[10:11], -v[227:228]
	v_mul_f64 v[149:150], v[149:150], s[36:37]
	v_fma_f64 v[227:228], v[131:132], s[28:29], v[141:142]
	v_fma_f64 v[131:132], v[131:132], s[28:29], -v[141:142]
	v_mul_f64 v[139:140], v[139:140], s[36:37]
	v_fma_f64 v[104:105], v[129:130], s[28:29], v[100:101]
	v_fma_f64 v[100:101], v[129:130], s[28:29], -v[100:101]
	v_add_f64 v[70:71], v[86:87], v[70:71]
	v_add_f64 v[68:69], v[96:97], v[68:69]
	v_add_f64 v[217:218], v[223:224], v[217:218]
	v_add_f64 v[187:188], v[187:188], v[197:198]
	v_mul_f64 v[197:198], v[157:158], s[38:39]
	v_fma_f64 v[223:224], v[143:144], s[18:19], -v[215:216]
	v_add_f64 v[193:194], v[221:222], v[193:194]
	v_fma_f64 v[215:216], v[143:144], s[18:19], v[215:216]
	v_add_f64 v[189:190], v[195:196], v[189:190]
	v_mul_f64 v[155:156], v[155:156], s[26:27]
	v_add_f64 v[221:222], v[82:83], v[227:228]
	v_mul_f64 v[106:107], v[147:148], s[26:27]
	v_fma_f64 v[129:130], v[137:138], s[34:35], -v[149:150]
	v_add_f64 v[82:83], v[82:83], v[131:132]
	v_fma_f64 v[131:132], v[135:136], s[34:35], v[139:140]
	v_add_f64 v[86:87], v[80:81], v[104:105]
	v_add_f64 v[213:214], v[80:81], v[213:214]
	v_fma_f64 v[195:196], v[137:138], s[34:35], v[149:150]
	v_fma_f64 v[96:97], v[135:136], s[34:35], -v[139:140]
	v_add_f64 v[80:81], v[80:81], v[100:101]
	v_add_f64 v[70:71], v[70:71], v[74:75]
	;; [unrolled: 1-line block ×4, first 2 shown]
	v_mul_f64 v[229:230], v[165:166], s[42:43]
	v_fma_f64 v[90:91], v[151:152], s[10:11], v[197:198]
	v_add_f64 v[189:190], v[215:216], v[189:190]
	v_mul_f64 v[163:164], v[163:164], s[16:17]
	v_mul_f64 v[157:158], v[157:158], s[16:17]
	v_fma_f64 v[100:101], v[145:146], s[24:25], -v[155:156]
	v_add_f64 v[82:83], v[129:130], v[82:83]
	v_fma_f64 v[104:105], v[143:144], s[24:25], v[106:107]
	v_add_f64 v[72:73], v[131:132], v[86:87]
	v_fma_f64 v[219:220], v[159:160], s[34:35], v[219:220]
	v_add_f64 v[213:214], v[225:226], v[213:214]
	v_mul_f64 v[225:226], v[171:172], s[42:43]
	v_add_f64 v[88:89], v[211:212], v[193:194]
	v_fma_f64 v[193:194], v[145:146], s[24:25], v[155:156]
	v_add_f64 v[195:196], v[195:196], v[221:222]
	v_fma_f64 v[74:75], v[143:144], s[24:25], -v[106:107]
	v_add_f64 v[80:81], v[96:97], v[80:81]
	v_add_f64 v[70:71], v[70:71], v[78:79]
	v_add_f64 v[68:69], v[68:69], v[76:77]
	v_fma_f64 v[92:93], v[159:160], s[24:25], v[229:230]
	v_add_f64 v[90:91], v[90:91], v[189:190]
	v_mul_f64 v[94:95], v[171:172], s[20:21]
	v_mul_f64 v[133:134], v[165:166], s[20:21]
	v_fma_f64 v[86:87], v[153:154], s[8:9], -v[163:164]
	v_add_f64 v[82:83], v[100:101], v[82:83]
	v_fma_f64 v[96:97], v[151:152], s[8:9], v[157:158]
	v_add_f64 v[72:73], v[104:105], v[72:73]
	v_fma_f64 v[199:200], v[167:168], s[10:11], -v[199:200]
	v_fma_f64 v[191:192], v[169:170], s[10:11], v[191:192]
	v_add_f64 v[219:220], v[219:220], v[187:188]
	v_add_f64 v[213:214], v[223:224], v[213:214]
	v_mul_f64 v[223:224], v[175:176], s[44:45]
	v_fma_f64 v[235:236], v[161:162], s[24:25], v[225:226]
	v_fma_f64 v[225:226], v[161:162], s[24:25], -v[225:226]
	v_fma_f64 v[233:234], v[151:152], s[10:11], -v[197:198]
	v_fma_f64 v[171:172], v[153:154], s[8:9], v[163:164]
	v_add_f64 v[189:190], v[193:194], v[195:196]
	v_fma_f64 v[76:77], v[151:152], s[8:9], -v[157:158]
	v_add_f64 v[74:75], v[74:75], v[80:81]
	v_add_f64 v[10:11], v[70:71], v[10:11]
	;; [unrolled: 1-line block ×4, first 2 shown]
	v_mul_f64 v[92:93], v[175:176], s[22:23]
	v_mul_f64 v[102:103], v[173:174], s[22:23]
	v_fma_f64 v[78:79], v[161:162], s[10:11], -v[94:95]
	v_add_f64 v[80:81], v[86:87], v[82:83]
	v_fma_f64 v[82:83], v[159:160], s[10:11], v[133:134]
	v_add_f64 v[68:69], v[96:97], v[72:73]
	v_add_f64 v[187:188], v[199:200], v[185:186]
	v_mul_f64 v[199:200], v[173:174], s[44:45]
	v_add_f64 v[185:186], v[191:192], v[219:220]
	v_fma_f64 v[191:192], v[167:168], s[28:29], v[223:224]
	v_fma_f64 v[223:224], v[167:168], s[28:29], -v[223:224]
	v_add_f64 v[88:89], v[225:226], v[88:89]
	v_add_f64 v[217:218], v[231:232], v[217:218]
	v_fma_f64 v[231:232], v[159:160], s[24:25], -v[229:230]
	v_add_f64 v[213:214], v[233:234], v[213:214]
	v_fma_f64 v[98:99], v[161:162], s[10:11], v[94:95]
	v_add_f64 v[171:172], v[171:172], v[189:190]
	v_fma_f64 v[70:71], v[159:160], s[10:11], -v[133:134]
	v_add_f64 v[72:73], v[76:77], v[74:75]
	v_add_f64 v[6:7], v[10:11], v[6:7]
	v_add_f64 v[10:11], v[8:9], v[4:5]
	v_fma_f64 v[74:75], v[167:168], s[18:19], -v[92:93]
	v_add_f64 v[76:77], v[78:79], v[80:81]
	v_fma_f64 v[78:79], v[169:170], s[18:19], v[102:103]
	v_add_f64 v[68:69], v[82:83], v[68:69]
	v_add_f64 v[84:85], v[223:224], v[88:89]
	v_fma_f64 v[88:89], v[169:170], s[28:29], v[199:200]
	v_add_f64 v[217:218], v[235:236], v[217:218]
	v_fma_f64 v[219:220], v[169:170], s[28:29], -v[199:200]
	v_add_f64 v[213:214], v[231:232], v[213:214]
	v_fma_f64 v[80:81], v[167:168], s[18:19], v[92:93]
	v_add_f64 v[86:87], v[98:99], v[171:172]
	v_fma_f64 v[92:93], v[169:170], s[18:19], -v[102:103]
	v_add_f64 v[72:73], v[70:71], v[72:73]
	v_add_f64 v[8:9], v[6:7], v[2:3]
	;; [unrolled: 1-line block ×6, first 2 shown]
	v_lshl_add_u32 v0, v208, 4, v207
	v_add_f64 v[70:71], v[191:192], v[217:218]
	v_add_f64 v[68:69], v[219:220], v[213:214]
	;; [unrolled: 1-line block ×4, first 2 shown]
	ds_write_b128 v0, v[6:9]
	ds_write_b128 v0, v[2:5] offset:16
	ds_write_b128 v0, v[82:85] offset:32
	;; [unrolled: 1-line block ×12, first 2 shown]
.LBB0_17:
	s_or_b64 exec, exec, s[40:41]
	s_waitcnt lgkmcnt(0)
	s_barrier
	ds_read_b128 v[0:3], v201
	ds_read_b128 v[72:75], v201 offset:1456
	ds_read_b128 v[4:7], v201 offset:2912
	;; [unrolled: 1-line block ×4, first 2 shown]
	s_and_saveexec_b64 s[8:9], s[2:3]
	s_cbranch_execz .LBB0_19
; %bb.18:
	ds_read_b128 v[108:111], v201 offset:1040
	ds_read_b128 v[112:115], v201 offset:2496
	;; [unrolled: 1-line block ×5, first 2 shown]
.LBB0_19:
	s_or_b64 exec, exec, s[8:9]
	s_waitcnt lgkmcnt(2)
	v_mul_f64 v[76:77], v[30:31], v[6:7]
	s_waitcnt lgkmcnt(1)
	v_mul_f64 v[78:79], v[38:39], v[10:11]
	v_mul_f64 v[80:81], v[42:43], v[74:75]
	;; [unrolled: 1-line block ×4, first 2 shown]
	s_waitcnt lgkmcnt(0)
	v_mul_f64 v[82:83], v[34:35], v[68:69]
	s_mov_b32 s8, 0x134454ff
	s_mov_b32 s9, 0xbfee6f0e
	v_fma_f64 v[76:77], v[28:29], v[4:5], v[76:77]
	v_fma_f64 v[78:79], v[36:37], v[8:9], v[78:79]
	v_mul_f64 v[4:5], v[38:39], v[8:9]
	v_mul_f64 v[8:9], v[34:35], v[70:71]
	v_fma_f64 v[34:35], v[40:41], v[72:73], v[80:81]
	v_fma_f64 v[38:39], v[40:41], v[74:75], -v[42:43]
	v_fma_f64 v[40:41], v[32:33], v[70:71], -v[82:83]
	;; [unrolled: 1-line block ×3, first 2 shown]
	s_mov_b32 s10, 0x4755a5e
	v_add_f64 v[42:43], v[76:77], v[78:79]
	v_fma_f64 v[10:11], v[36:37], v[10:11], -v[4:5]
	v_fma_f64 v[8:9], v[32:33], v[68:69], v[8:9]
	v_add_f64 v[4:5], v[0:1], v[34:35]
	v_add_f64 v[36:37], v[34:35], -v[76:77]
	v_add_f64 v[28:29], v[38:39], -v[40:41]
	v_add_f64 v[80:81], v[38:39], v[40:41]
	s_mov_b32 s19, 0x3fee6f0e
	v_fma_f64 v[30:31], v[42:43], -0.5, v[0:1]
	v_add_f64 v[32:33], v[6:7], -v[10:11]
	v_add_f64 v[42:43], v[8:9], -v[78:79]
	v_add_f64 v[68:69], v[34:35], v[8:9]
	v_add_f64 v[4:5], v[4:5], v[76:77]
	s_mov_b32 s18, s8
	s_mov_b32 s11, 0xbfe2cf23
	v_add_f64 v[74:75], v[2:3], v[38:39]
	v_fma_f64 v[70:71], v[28:29], s[8:9], v[30:31]
	v_fma_f64 v[30:31], v[28:29], s[18:19], v[30:31]
	v_add_f64 v[36:37], v[36:37], v[42:43]
	v_fma_f64 v[42:43], v[68:69], -0.5, v[0:1]
	v_add_f64 v[0:1], v[4:5], v[78:79]
	v_add_f64 v[68:69], v[6:7], v[10:11]
	v_add_f64 v[72:73], v[76:77], -v[34:35]
	s_mov_b32 s21, 0x3fe2cf23
	v_fma_f64 v[4:5], v[32:33], s[10:11], v[70:71]
	v_add_f64 v[70:71], v[78:79], -v[8:9]
	s_mov_b32 s20, s10
	v_fma_f64 v[82:83], v[32:33], s[18:19], v[42:43]
	v_add_f64 v[0:1], v[0:1], v[8:9]
	v_fma_f64 v[68:69], v[68:69], -0.5, v[2:3]
	v_add_f64 v[8:9], v[34:35], -v[8:9]
	v_add_f64 v[34:35], v[76:77], -v[78:79]
	v_fma_f64 v[2:3], v[80:81], -0.5, v[2:3]
	v_fma_f64 v[30:31], v[32:33], s[20:21], v[30:31]
	v_fma_f64 v[32:33], v[32:33], s[8:9], v[42:43]
	v_add_f64 v[42:43], v[74:75], v[6:7]
	v_add_f64 v[70:71], v[72:73], v[70:71]
	v_add_f64 v[74:75], v[38:39], -v[6:7]
	v_fma_f64 v[72:73], v[8:9], s[18:19], v[68:69]
	v_add_f64 v[78:79], v[40:41], -v[10:11]
	v_fma_f64 v[80:81], v[34:35], s[8:9], v[2:3]
	v_add_f64 v[6:7], v[6:7], -v[38:39]
	v_add_f64 v[38:39], v[10:11], -v[40:41]
	v_fma_f64 v[2:3], v[34:35], s[18:19], v[2:3]
	v_fma_f64 v[68:69], v[8:9], s[8:9], v[68:69]
	v_add_f64 v[10:11], v[42:43], v[10:11]
	v_fma_f64 v[42:43], v[34:35], s[20:21], v[72:73]
	v_add_f64 v[72:73], v[74:75], v[78:79]
	v_fma_f64 v[76:77], v[28:29], s[10:11], v[82:83]
	v_fma_f64 v[74:75], v[8:9], s[20:21], v[80:81]
	v_add_f64 v[38:39], v[6:7], v[38:39]
	v_fma_f64 v[32:33], v[28:29], s[20:21], v[32:33]
	v_fma_f64 v[78:79], v[8:9], s[10:11], v[2:3]
	;; [unrolled: 1-line block ×3, first 2 shown]
	s_mov_b32 s16, 0x372fe950
	s_mov_b32 s17, 0x3fd3c6ef
	v_add_f64 v[2:3], v[10:11], v[40:41]
	v_fma_f64 v[4:5], v[36:37], s[16:17], v[4:5]
	v_fma_f64 v[6:7], v[72:73], s[16:17], v[42:43]
	;; [unrolled: 1-line block ×8, first 2 shown]
	s_barrier
	ds_write_b128 v210, v[0:3]
	ds_write_b128 v210, v[4:7] offset:208
	ds_write_b128 v210, v[28:31] offset:416
	;; [unrolled: 1-line block ×4, first 2 shown]
	s_and_saveexec_b64 s[22:23], s[2:3]
	s_cbranch_execz .LBB0_21
; %bb.20:
	v_mul_f64 v[2:3], v[14:15], v[112:113]
	v_mul_f64 v[4:5], v[18:19], v[120:121]
	;; [unrolled: 1-line block ×8, first 2 shown]
	v_fma_f64 v[2:3], v[12:13], v[114:115], -v[2:3]
	v_fma_f64 v[4:5], v[16:17], v[122:123], -v[4:5]
	;; [unrolled: 1-line block ×4, first 2 shown]
	v_fma_f64 v[8:9], v[24:25], v[116:117], v[8:9]
	v_fma_f64 v[10:11], v[20:21], v[124:125], v[10:11]
	;; [unrolled: 1-line block ×4, first 2 shown]
	v_add_f64 v[32:33], v[110:111], v[2:3]
	v_add_f64 v[6:7], v[2:3], v[4:5]
	v_add_f64 v[14:15], v[0:1], -v[2:3]
	v_add_f64 v[26:27], v[0:1], v[22:23]
	v_add_f64 v[18:19], v[22:23], -v[4:5]
	v_add_f64 v[20:21], v[8:9], -v[10:11]
	v_add_f64 v[28:29], v[2:3], -v[0:1]
	v_add_f64 v[24:25], v[12:13], -v[16:17]
	v_add_f64 v[30:31], v[4:5], -v[22:23]
	v_fma_f64 v[6:7], v[6:7], -0.5, v[110:111]
	v_add_f64 v[38:39], v[2:3], -v[4:5]
	v_fma_f64 v[2:3], v[26:27], -0.5, v[110:111]
	v_add_f64 v[68:69], v[8:9], v[10:11]
	v_add_f64 v[26:27], v[12:13], v[16:17]
	;; [unrolled: 1-line block ×4, first 2 shown]
	v_add_f64 v[42:43], v[0:1], -v[22:23]
	v_fma_f64 v[40:41], v[20:21], s[18:19], v[6:7]
	v_fma_f64 v[6:7], v[20:21], s[8:9], v[6:7]
	;; [unrolled: 1-line block ×4, first 2 shown]
	v_fma_f64 v[26:27], v[26:27], -0.5, v[108:109]
	v_add_f64 v[34:35], v[8:9], -v[12:13]
	v_add_f64 v[0:1], v[32:33], v[0:1]
	v_add_f64 v[12:13], v[12:13], -v[8:9]
	v_fma_f64 v[40:41], v[24:25], s[10:11], v[40:41]
	v_fma_f64 v[6:7], v[24:25], s[20:21], v[6:7]
	v_add_f64 v[24:25], v[28:29], v[30:31]
	v_fma_f64 v[28:29], v[68:69], -0.5, v[108:109]
	v_add_f64 v[8:9], v[70:71], v[8:9]
	v_add_f64 v[36:37], v[10:11], -v[16:17]
	v_fma_f64 v[18:19], v[20:21], s[10:11], v[18:19]
	v_fma_f64 v[20:21], v[20:21], s[20:21], v[2:3]
	;; [unrolled: 1-line block ×4, first 2 shown]
	v_add_f64 v[14:15], v[16:17], -v[10:11]
	v_fma_f64 v[30:31], v[38:39], s[8:9], v[28:29]
	v_fma_f64 v[32:33], v[42:43], s[18:19], v[26:27]
	;; [unrolled: 1-line block ×4, first 2 shown]
	v_add_f64 v[0:1], v[0:1], v[22:23]
	v_add_f64 v[8:9], v[8:9], v[10:11]
	;; [unrolled: 1-line block ×4, first 2 shown]
	v_fma_f64 v[12:13], v[42:43], s[10:11], v[30:31]
	v_fma_f64 v[30:31], v[38:39], s[10:11], v[32:33]
	;; [unrolled: 1-line block ×5, first 2 shown]
	v_add_f64 v[18:19], v[0:1], v[4:5]
	v_add_f64 v[16:17], v[8:9], v[16:17]
	v_fma_f64 v[14:15], v[24:25], s[16:17], v[20:21]
	v_fma_f64 v[12:13], v[34:35], s[16:17], v[12:13]
	;; [unrolled: 1-line block ×5, first 2 shown]
	v_mul_u32_u24_e32 v20, 0x41, v203
	v_add_u32_sdwa v20, v20, v204 dst_sel:DWORD dst_unused:UNUSED_PAD src0_sel:DWORD src1_sel:BYTE_0
	v_lshl_add_u32 v20, v20, 4, v207
	ds_write_b128 v20, v[16:19]
	ds_write_b128 v20, v[12:15] offset:208
	ds_write_b128 v20, v[4:7] offset:416
	;; [unrolled: 1-line block ×4, first 2 shown]
.LBB0_21:
	s_or_b64 exec, exec, s[22:23]
	s_waitcnt lgkmcnt(0)
	s_barrier
	ds_read_b128 v[0:3], v201 offset:1040
	ds_read_b128 v[4:7], v201 offset:2080
	;; [unrolled: 1-line block ×3, first 2 shown]
	ds_read_b128 v[12:15], v201
	ds_read_b128 v[16:19], v201 offset:4160
	ds_read_b128 v[20:23], v201 offset:5200
	;; [unrolled: 1-line block ×3, first 2 shown]
	s_mov_b32 s2, 0x37e14327
	s_waitcnt lgkmcnt(6)
	v_mul_f64 v[28:29], v[58:59], v[2:3]
	v_mul_f64 v[30:31], v[58:59], v[0:1]
	s_waitcnt lgkmcnt(5)
	v_mul_f64 v[32:33], v[54:55], v[6:7]
	v_mul_f64 v[34:35], v[54:55], v[4:5]
	;; [unrolled: 3-line block ×3, first 2 shown]
	v_mul_f64 v[40:41], v[46:47], v[18:19]
	v_mul_f64 v[42:43], v[46:47], v[16:17]
	v_fma_f64 v[0:1], v[56:57], v[0:1], v[28:29]
	v_fma_f64 v[2:3], v[56:57], v[2:3], -v[30:31]
	s_waitcnt lgkmcnt(0)
	v_mul_f64 v[28:29], v[62:63], v[26:27]
	v_mul_f64 v[30:31], v[62:63], v[24:25]
	v_fma_f64 v[4:5], v[52:53], v[4:5], v[32:33]
	v_fma_f64 v[6:7], v[52:53], v[6:7], -v[34:35]
	v_mul_f64 v[32:33], v[50:51], v[10:11]
	v_mul_f64 v[34:35], v[50:51], v[8:9]
	v_fma_f64 v[20:21], v[64:65], v[20:21], v[36:37]
	v_fma_f64 v[22:23], v[64:65], v[22:23], -v[38:39]
	v_fma_f64 v[24:25], v[60:61], v[24:25], v[28:29]
	v_fma_f64 v[26:27], v[60:61], v[26:27], -v[30:31]
	;; [unrolled: 2-line block ×4, first 2 shown]
	s_mov_b32 s3, 0x3fe948f6
	s_mov_b32 s8, 0xe976ee23
	v_add_f64 v[28:29], v[0:1], v[24:25]
	v_add_f64 v[30:31], v[2:3], v[26:27]
	v_add_f64 v[0:1], v[0:1], -v[24:25]
	v_add_f64 v[2:3], v[2:3], -v[26:27]
	v_add_f64 v[24:25], v[4:5], v[20:21]
	v_add_f64 v[26:27], v[6:7], v[22:23]
	v_add_f64 v[4:5], v[4:5], -v[20:21]
	v_add_f64 v[6:7], v[6:7], -v[22:23]
	;; [unrolled: 4-line block ×4, first 2 shown]
	v_add_f64 v[28:29], v[28:29], -v[20:21]
	v_add_f64 v[30:31], v[30:31], -v[22:23]
	v_add_f64 v[36:37], v[8:9], v[4:5]
	v_add_f64 v[38:39], v[10:11], v[6:7]
	;; [unrolled: 1-line block ×4, first 2 shown]
	v_add_f64 v[24:25], v[20:21], -v[24:25]
	v_add_f64 v[26:27], v[22:23], -v[26:27]
	;; [unrolled: 1-line block ×8, first 2 shown]
	v_add_f64 v[20:21], v[36:37], v[0:1]
	v_add_f64 v[22:23], v[38:39], v[2:3]
	;; [unrolled: 1-line block ×4, first 2 shown]
	v_mul_f64 v[12:13], v[28:29], s[2:3]
	v_mul_f64 v[14:15], v[30:31], s[2:3]
	s_mov_b32 s2, 0x36b3c0b5
	s_mov_b32 s3, 0x3fac98ee
	v_mul_f64 v[28:29], v[24:25], s[2:3]
	v_mul_f64 v[30:31], v[26:27], s[2:3]
	s_mov_b32 s9, 0x3fe11646
	v_mul_f64 v[36:37], v[40:41], s[8:9]
	v_mul_f64 v[38:39], v[42:43], s[8:9]
	s_mov_b32 s8, 0x429ad128
	s_mov_b32 s9, 0xbfebfeb5
	v_mul_f64 v[40:41], v[4:5], s[8:9]
	v_mul_f64 v[42:43], v[6:7], s[8:9]
	v_fma_f64 v[24:25], v[24:25], s[2:3], v[12:13]
	v_fma_f64 v[26:27], v[26:27], s[2:3], v[14:15]
	s_mov_b32 s3, 0x3fe77f67
	s_mov_b32 s2, 0x5476071b
	;; [unrolled: 1-line block ×3, first 2 shown]
	v_fma_f64 v[28:29], v[32:33], s[2:3], -v[28:29]
	v_fma_f64 v[30:31], v[34:35], s[2:3], -v[30:31]
	s_mov_b32 s3, 0xbfe77f67
	s_mov_b32 s11, 0xbff2aaaa
	v_fma_f64 v[12:13], v[32:33], s[2:3], -v[12:13]
	v_fma_f64 v[14:15], v[34:35], s[2:3], -v[14:15]
	s_mov_b32 s3, 0xbfd5d0dc
	s_mov_b32 s2, 0xb247c609
	v_fma_f64 v[16:17], v[16:17], s[10:11], v[0:1]
	v_fma_f64 v[18:19], v[18:19], s[10:11], v[2:3]
	;; [unrolled: 1-line block ×4, first 2 shown]
	s_mov_b32 s3, 0x3fd5d0dc
	v_fma_f64 v[8:9], v[8:9], s[2:3], -v[40:41]
	v_fma_f64 v[10:11], v[10:11], s[2:3], -v[42:43]
	;; [unrolled: 1-line block ×4, first 2 shown]
	s_mov_b32 s2, 0x37c3f68c
	s_mov_b32 s3, 0xbfdc38aa
	v_add_f64 v[24:25], v[24:25], v[16:17]
	v_add_f64 v[26:27], v[26:27], v[18:19]
	v_fma_f64 v[34:35], v[22:23], s[2:3], v[34:35]
	v_fma_f64 v[32:33], v[20:21], s[2:3], v[32:33]
	v_add_f64 v[36:37], v[12:13], v[16:17]
	v_add_f64 v[38:39], v[14:15], v[18:19]
	v_fma_f64 v[40:41], v[22:23], s[2:3], v[10:11]
	v_fma_f64 v[42:43], v[20:21], s[2:3], v[8:9]
	;; [unrolled: 4-line block ×3, first 2 shown]
	v_add_f64 v[4:5], v[34:35], v[24:25]
	v_add_f64 v[6:7], v[26:27], -v[32:33]
	v_add_f64 v[8:9], v[40:41], v[36:37]
	v_add_f64 v[10:11], v[38:39], -v[42:43]
	v_add_f64 v[20:21], v[36:37], -v[40:41]
	v_add_f64 v[22:23], v[42:43], v[38:39]
	v_add_f64 v[12:13], v[28:29], -v[16:17]
	v_add_f64 v[14:15], v[18:19], v[30:31]
	v_add_f64 v[16:17], v[16:17], v[28:29]
	v_add_f64 v[18:19], v[30:31], -v[18:19]
	v_add_f64 v[24:25], v[24:25], -v[34:35]
	v_add_f64 v[26:27], v[32:33], v[26:27]
	ds_write_b128 v202, v[0:3]
	ds_write_b128 v202, v[4:7] offset:1040
	ds_write_b128 v202, v[8:11] offset:2080
	;; [unrolled: 1-line block ×6, first 2 shown]
	s_waitcnt lgkmcnt(0)
	s_barrier
	s_and_b64 exec, exec, s[0:1]
	s_cbranch_execz .LBB0_23
; %bb.22:
	global_load_dwordx4 v[0:3], v206, s[14:15]
	global_load_dwordx4 v[4:7], v206, s[14:15] offset:560
	global_load_dwordx4 v[8:11], v206, s[14:15] offset:1120
	;; [unrolled: 1-line block ×4, first 2 shown]
	ds_read_b128 v[20:23], v202
	ds_read_b128 v[24:27], v202 offset:560
	ds_read_b128 v[28:31], v202 offset:1120
	;; [unrolled: 1-line block ×3, first 2 shown]
	global_load_dwordx4 v[36:39], v206, s[14:15] offset:2800
	ds_read_b128 v[40:43], v202 offset:2240
	ds_read_b128 v[44:47], v202 offset:2800
	global_load_dwordx4 v[48:51], v206, s[14:15] offset:3360
	global_load_dwordx4 v[52:55], v206, s[14:15] offset:3920
	v_mov_b32_e32 v56, s15
	v_mad_u64_u32 v[74:75], s[2:3], s4, v205, 0
	v_add_co_u32_e32 v57, vcc, s14, v206
	v_mad_u64_u32 v[72:73], s[0:1], s6, v128, 0
	s_mul_hi_u32 s6, s4, 0x230
	s_mul_i32 s2, s4, 0x230
	s_movk_i32 s4, 0x1000
	v_addc_co_u32_e32 v56, vcc, 0, v56, vcc
	v_add_co_u32_e32 v76, vcc, s4, v57
	v_addc_co_u32_e32 v77, vcc, 0, v56, vcc
	global_load_dwordx4 v[56:59], v[76:77], off offset:384
	global_load_dwordx4 v[60:63], v[76:77], off offset:944
	s_mul_i32 s3, s5, 0x230
	v_mov_b32_e32 v64, v73
	v_mov_b32_e32 v65, v75
	s_add_i32 s3, s6, s3
	v_mad_u64_u32 v[78:79], s[6:7], s7, v128, v[64:65]
	v_mad_u64_u32 v[79:80], s[4:5], s5, v205, v[65:66]
	v_mov_b32_e32 v73, v78
	v_lshlrev_b64 v[72:73], 4, v[72:73]
	v_mov_b32_e32 v75, v79
	v_mov_b32_e32 v81, s13
	global_load_dwordx4 v[64:67], v[76:77], off offset:1504
	global_load_dwordx4 v[68:71], v[76:77], off offset:2064
	v_lshlrev_b64 v[74:75], 4, v[74:75]
	v_add_co_u32_e32 v72, vcc, s12, v72
	v_addc_co_u32_e32 v73, vcc, v81, v73, vcc
	v_add_co_u32_e32 v72, vcc, v72, v74
	v_addc_co_u32_e32 v73, vcc, v73, v75, vcc
	v_mov_b32_e32 v82, s3
	v_add_co_u32_e32 v74, vcc, s2, v72
	v_addc_co_u32_e32 v75, vcc, v73, v82, vcc
	v_mov_b32_e32 v83, s3
	;; [unrolled: 3-line block ×3, first 2 shown]
	v_add_co_u32_e32 v80, vcc, s2, v78
	v_addc_co_u32_e32 v81, vcc, v79, v84, vcc
	s_mov_b32 s0, 0x12012012
	s_mov_b32 s1, 0x3f620120
	s_waitcnt vmcnt(11) lgkmcnt(5)
	v_mul_f64 v[82:83], v[22:23], v[2:3]
	v_mul_f64 v[2:3], v[20:21], v[2:3]
	s_waitcnt vmcnt(10) lgkmcnt(4)
	v_mul_f64 v[84:85], v[26:27], v[6:7]
	v_mul_f64 v[6:7], v[24:25], v[6:7]
	;; [unrolled: 3-line block ×4, first 2 shown]
	v_fma_f64 v[20:21], v[20:21], v[0:1], v[82:83]
	v_fma_f64 v[2:3], v[0:1], v[22:23], -v[2:3]
	v_fma_f64 v[22:23], v[24:25], v[4:5], v[84:85]
	v_fma_f64 v[6:7], v[4:5], v[26:27], -v[6:7]
	;; [unrolled: 2-line block ×4, first 2 shown]
	s_waitcnt vmcnt(7) lgkmcnt(1)
	v_mul_f64 v[90:91], v[42:43], v[18:19]
	v_mul_f64 v[18:19], v[40:41], v[18:19]
	;; [unrolled: 1-line block ×10, first 2 shown]
	v_fma_f64 v[20:21], v[40:41], v[16:17], v[90:91]
	v_fma_f64 v[16:17], v[16:17], v[42:43], -v[18:19]
	s_waitcnt vmcnt(6) lgkmcnt(0)
	v_mul_f64 v[18:19], v[46:47], v[38:39]
	v_mul_f64 v[22:23], v[44:45], v[38:39]
	global_store_dwordx4 v[72:73], v[0:3], off
	global_store_dwordx4 v[74:75], v[4:7], off
	;; [unrolled: 1-line block ×4, first 2 shown]
	ds_read_b128 v[4:7], v202 offset:3360
	ds_read_b128 v[8:11], v202 offset:3920
	v_mul_f64 v[0:1], v[20:21], s[0:1]
	v_mul_f64 v[2:3], v[16:17], s[0:1]
	v_fma_f64 v[12:13], v[44:45], v[36:37], v[18:19]
	v_fma_f64 v[14:15], v[36:37], v[46:47], -v[22:23]
	s_waitcnt vmcnt(9) lgkmcnt(1)
	v_mul_f64 v[16:17], v[6:7], v[50:51]
	v_mul_f64 v[18:19], v[4:5], v[50:51]
	v_mov_b32_e32 v21, s3
	v_add_co_u32_e32 v20, vcc, s2, v80
	v_addc_co_u32_e32 v21, vcc, v81, v21, vcc
	global_store_dwordx4 v[20:21], v[0:3], off
	v_fma_f64 v[4:5], v[4:5], v[48:49], v[16:17]
	v_mul_f64 v[0:1], v[12:13], s[0:1]
	v_mul_f64 v[2:3], v[14:15], s[0:1]
	v_fma_f64 v[6:7], v[48:49], v[6:7], -v[18:19]
	s_waitcnt vmcnt(9) lgkmcnt(0)
	v_mul_f64 v[12:13], v[10:11], v[54:55]
	v_mul_f64 v[14:15], v[8:9], v[54:55]
	v_mov_b32_e32 v22, s3
	v_add_co_u32_e32 v16, vcc, s2, v20
	v_addc_co_u32_e32 v17, vcc, v21, v22, vcc
	global_store_dwordx4 v[16:17], v[0:3], off
	v_fma_f64 v[12:13], v[8:9], v[52:53], v[12:13]
	v_mul_f64 v[0:1], v[4:5], s[0:1]
	v_mul_f64 v[2:3], v[6:7], s[0:1]
	ds_read_b128 v[4:7], v202 offset:4480
	v_fma_f64 v[14:15], v[52:53], v[10:11], -v[14:15]
	ds_read_b128 v[8:11], v202 offset:5040
	v_add_co_u32_e32 v16, vcc, s2, v16
	s_waitcnt vmcnt(9) lgkmcnt(1)
	v_mul_f64 v[18:19], v[6:7], v[58:59]
	v_mul_f64 v[20:21], v[4:5], v[58:59]
	v_addc_co_u32_e32 v17, vcc, v17, v22, vcc
	global_store_dwordx4 v[16:17], v[0:3], off
	v_add_co_u32_e32 v16, vcc, s2, v16
	v_mul_f64 v[0:1], v[12:13], s[0:1]
	v_mul_f64 v[2:3], v[14:15], s[0:1]
	v_fma_f64 v[4:5], v[4:5], v[56:57], v[18:19]
	v_fma_f64 v[6:7], v[56:57], v[6:7], -v[20:21]
	s_waitcnt vmcnt(9) lgkmcnt(0)
	v_mul_f64 v[12:13], v[10:11], v[62:63]
	v_mul_f64 v[14:15], v[8:9], v[62:63]
	v_addc_co_u32_e32 v17, vcc, v17, v22, vcc
	v_mov_b32_e32 v18, s3
	global_store_dwordx4 v[16:17], v[0:3], off
	v_add_co_u32_e32 v16, vcc, s2, v16
	v_mul_f64 v[0:1], v[4:5], s[0:1]
	v_mul_f64 v[2:3], v[6:7], s[0:1]
	v_fma_f64 v[12:13], v[8:9], v[60:61], v[12:13]
	v_fma_f64 v[14:15], v[60:61], v[10:11], -v[14:15]
	ds_read_b128 v[4:7], v202 offset:5600
	ds_read_b128 v[8:11], v202 offset:6160
	v_addc_co_u32_e32 v17, vcc, v17, v18, vcc
	s_waitcnt vmcnt(9) lgkmcnt(1)
	v_mul_f64 v[18:19], v[6:7], v[66:67]
	v_mul_f64 v[20:21], v[4:5], v[66:67]
	s_waitcnt vmcnt(8) lgkmcnt(0)
	v_mul_f64 v[22:23], v[10:11], v[70:71]
	v_mul_f64 v[24:25], v[8:9], v[70:71]
	global_store_dwordx4 v[16:17], v[0:3], off
	v_fma_f64 v[4:5], v[4:5], v[64:65], v[18:19]
	v_mul_f64 v[0:1], v[12:13], s[0:1]
	v_mul_f64 v[2:3], v[14:15], s[0:1]
	v_fma_f64 v[6:7], v[64:65], v[6:7], -v[20:21]
	v_fma_f64 v[8:9], v[8:9], v[68:69], v[22:23]
	v_fma_f64 v[10:11], v[68:69], v[10:11], -v[24:25]
	v_mov_b32_e32 v13, s3
	v_add_co_u32_e32 v12, vcc, s2, v16
	v_addc_co_u32_e32 v13, vcc, v17, v13, vcc
	global_store_dwordx4 v[12:13], v[0:3], off
	v_mov_b32_e32 v14, s3
	v_mul_f64 v[0:1], v[4:5], s[0:1]
	v_mul_f64 v[2:3], v[6:7], s[0:1]
	v_mul_f64 v[4:5], v[8:9], s[0:1]
	v_mul_f64 v[6:7], v[10:11], s[0:1]
	v_add_co_u32_e32 v8, vcc, s2, v12
	v_addc_co_u32_e32 v9, vcc, v13, v14, vcc
	global_store_dwordx4 v[8:9], v[0:3], off
	s_nop 0
	v_mov_b32_e32 v0, s3
	v_add_co_u32_e32 v8, vcc, s2, v8
	v_addc_co_u32_e32 v9, vcc, v9, v0, vcc
	global_store_dwordx4 v[8:9], v[4:7], off
	global_load_dwordx4 v[0:3], v[76:77], off offset:2624
	ds_read_b128 v[4:7], v202 offset:6720
	s_waitcnt vmcnt(0) lgkmcnt(0)
	v_mul_f64 v[10:11], v[6:7], v[2:3]
	v_mul_f64 v[2:3], v[4:5], v[2:3]
	v_fma_f64 v[4:5], v[4:5], v[0:1], v[10:11]
	v_fma_f64 v[2:3], v[0:1], v[6:7], -v[2:3]
	v_mul_f64 v[0:1], v[4:5], s[0:1]
	v_mul_f64 v[2:3], v[2:3], s[0:1]
	v_mov_b32_e32 v5, s3
	v_add_co_u32_e32 v4, vcc, s2, v8
	v_addc_co_u32_e32 v5, vcc, v9, v5, vcc
	global_store_dwordx4 v[4:5], v[0:3], off
.LBB0_23:
	s_endpgm
	.section	.rodata,"a",@progbits
	.p2align	6, 0x0
	.amdhsa_kernel bluestein_single_back_len455_dim1_dp_op_CI_CI
		.amdhsa_group_segment_fixed_size 21840
		.amdhsa_private_segment_fixed_size 0
		.amdhsa_kernarg_size 104
		.amdhsa_user_sgpr_count 6
		.amdhsa_user_sgpr_private_segment_buffer 1
		.amdhsa_user_sgpr_dispatch_ptr 0
		.amdhsa_user_sgpr_queue_ptr 0
		.amdhsa_user_sgpr_kernarg_segment_ptr 1
		.amdhsa_user_sgpr_dispatch_id 0
		.amdhsa_user_sgpr_flat_scratch_init 0
		.amdhsa_user_sgpr_private_segment_size 0
		.amdhsa_uses_dynamic_stack 0
		.amdhsa_system_sgpr_private_segment_wavefront_offset 0
		.amdhsa_system_sgpr_workgroup_id_x 1
		.amdhsa_system_sgpr_workgroup_id_y 0
		.amdhsa_system_sgpr_workgroup_id_z 0
		.amdhsa_system_sgpr_workgroup_info 0
		.amdhsa_system_vgpr_workitem_id 0
		.amdhsa_next_free_vgpr 250
		.amdhsa_next_free_sgpr 52
		.amdhsa_reserve_vcc 1
		.amdhsa_reserve_flat_scratch 0
		.amdhsa_float_round_mode_32 0
		.amdhsa_float_round_mode_16_64 0
		.amdhsa_float_denorm_mode_32 3
		.amdhsa_float_denorm_mode_16_64 3
		.amdhsa_dx10_clamp 1
		.amdhsa_ieee_mode 1
		.amdhsa_fp16_overflow 0
		.amdhsa_exception_fp_ieee_invalid_op 0
		.amdhsa_exception_fp_denorm_src 0
		.amdhsa_exception_fp_ieee_div_zero 0
		.amdhsa_exception_fp_ieee_overflow 0
		.amdhsa_exception_fp_ieee_underflow 0
		.amdhsa_exception_fp_ieee_inexact 0
		.amdhsa_exception_int_div_zero 0
	.end_amdhsa_kernel
	.text
.Lfunc_end0:
	.size	bluestein_single_back_len455_dim1_dp_op_CI_CI, .Lfunc_end0-bluestein_single_back_len455_dim1_dp_op_CI_CI
                                        ; -- End function
	.section	.AMDGPU.csdata,"",@progbits
; Kernel info:
; codeLenInByte = 16908
; NumSgprs: 56
; NumVgprs: 250
; ScratchSize: 0
; MemoryBound: 0
; FloatMode: 240
; IeeeMode: 1
; LDSByteSize: 21840 bytes/workgroup (compile time only)
; SGPRBlocks: 6
; VGPRBlocks: 62
; NumSGPRsForWavesPerEU: 56
; NumVGPRsForWavesPerEU: 250
; Occupancy: 1
; WaveLimiterHint : 1
; COMPUTE_PGM_RSRC2:SCRATCH_EN: 0
; COMPUTE_PGM_RSRC2:USER_SGPR: 6
; COMPUTE_PGM_RSRC2:TRAP_HANDLER: 0
; COMPUTE_PGM_RSRC2:TGID_X_EN: 1
; COMPUTE_PGM_RSRC2:TGID_Y_EN: 0
; COMPUTE_PGM_RSRC2:TGID_Z_EN: 0
; COMPUTE_PGM_RSRC2:TIDIG_COMP_CNT: 0
	.type	__hip_cuid_b93d12776139fb64,@object ; @__hip_cuid_b93d12776139fb64
	.section	.bss,"aw",@nobits
	.globl	__hip_cuid_b93d12776139fb64
__hip_cuid_b93d12776139fb64:
	.byte	0                               ; 0x0
	.size	__hip_cuid_b93d12776139fb64, 1

	.ident	"AMD clang version 19.0.0git (https://github.com/RadeonOpenCompute/llvm-project roc-6.4.0 25133 c7fe45cf4b819c5991fe208aaa96edf142730f1d)"
	.section	".note.GNU-stack","",@progbits
	.addrsig
	.addrsig_sym __hip_cuid_b93d12776139fb64
	.amdgpu_metadata
---
amdhsa.kernels:
  - .args:
      - .actual_access:  read_only
        .address_space:  global
        .offset:         0
        .size:           8
        .value_kind:     global_buffer
      - .actual_access:  read_only
        .address_space:  global
        .offset:         8
        .size:           8
        .value_kind:     global_buffer
      - .actual_access:  read_only
        .address_space:  global
        .offset:         16
        .size:           8
        .value_kind:     global_buffer
      - .actual_access:  read_only
        .address_space:  global
        .offset:         24
        .size:           8
        .value_kind:     global_buffer
      - .actual_access:  read_only
        .address_space:  global
        .offset:         32
        .size:           8
        .value_kind:     global_buffer
      - .offset:         40
        .size:           8
        .value_kind:     by_value
      - .address_space:  global
        .offset:         48
        .size:           8
        .value_kind:     global_buffer
      - .address_space:  global
        .offset:         56
        .size:           8
        .value_kind:     global_buffer
      - .address_space:  global
        .offset:         64
        .size:           8
        .value_kind:     global_buffer
      - .address_space:  global
        .offset:         72
        .size:           8
        .value_kind:     global_buffer
      - .offset:         80
        .size:           4
        .value_kind:     by_value
      - .address_space:  global
        .offset:         88
        .size:           8
        .value_kind:     global_buffer
      - .address_space:  global
        .offset:         96
        .size:           8
        .value_kind:     global_buffer
    .group_segment_fixed_size: 21840
    .kernarg_segment_align: 8
    .kernarg_segment_size: 104
    .language:       OpenCL C
    .language_version:
      - 2
      - 0
    .max_flat_workgroup_size: 195
    .name:           bluestein_single_back_len455_dim1_dp_op_CI_CI
    .private_segment_fixed_size: 0
    .sgpr_count:     56
    .sgpr_spill_count: 0
    .symbol:         bluestein_single_back_len455_dim1_dp_op_CI_CI.kd
    .uniform_work_group_size: 1
    .uses_dynamic_stack: false
    .vgpr_count:     250
    .vgpr_spill_count: 0
    .wavefront_size: 64
amdhsa.target:   amdgcn-amd-amdhsa--gfx906
amdhsa.version:
  - 1
  - 2
...

	.end_amdgpu_metadata
